;; amdgpu-corpus repo=ROCm/rocFFT kind=compiled arch=gfx950 opt=O3
	.text
	.amdgcn_target "amdgcn-amd-amdhsa--gfx950"
	.amdhsa_code_object_version 6
	.protected	bluestein_single_back_len990_dim1_sp_op_CI_CI ; -- Begin function bluestein_single_back_len990_dim1_sp_op_CI_CI
	.globl	bluestein_single_back_len990_dim1_sp_op_CI_CI
	.p2align	8
	.type	bluestein_single_back_len990_dim1_sp_op_CI_CI,@function
bluestein_single_back_len990_dim1_sp_op_CI_CI: ; @bluestein_single_back_len990_dim1_sp_op_CI_CI
; %bb.0:
	s_load_dwordx4 s[8:11], s[0:1], 0x28
	v_mul_u32_u24_e32 v1, 0x254, v0
	v_mov_b32_e32 v77, 0
	v_add_u32_sdwa v84, s2, v1 dst_sel:DWORD dst_unused:UNUSED_PAD src0_sel:DWORD src1_sel:WORD_1
	v_mov_b32_e32 v85, v77
	s_waitcnt lgkmcnt(0)
	v_cmp_gt_u64_e32 vcc, s[8:9], v[84:85]
	s_and_saveexec_b64 s[2:3], vcc
	s_cbranch_execz .LBB0_31
; %bb.1:
	s_load_dwordx4 s[4:7], s[0:1], 0x18
	s_load_dwordx2 s[16:17], s[0:1], 0x0
	v_mov_b32_e32 v2, s10
	v_mov_b32_e32 v3, s11
	s_movk_i32 s2, 0x6e
	s_waitcnt lgkmcnt(0)
	s_load_dwordx4 s[8:11], s[4:5], 0x0
	v_mul_lo_u16_sdwa v1, v1, s2 dst_sel:DWORD dst_unused:UNUSED_PAD src0_sel:WORD_1 src1_sel:DWORD
	v_sub_u16_e32 v76, v0, v1
	v_lshlrev_b32_e32 v72, 3, v76
	v_mov_b32_e32 v73, v77
	s_waitcnt lgkmcnt(0)
	v_mad_u64_u32 v[0:1], s[2:3], s10, v84, 0
	v_mov_b32_e32 v4, v1
	v_mad_u64_u32 v[4:5], s[2:3], s11, v84, v[4:5]
	v_mov_b32_e32 v1, v4
	v_mad_u64_u32 v[4:5], s[2:3], s8, v76, 0
	v_mov_b32_e32 v6, v5
	v_mad_u64_u32 v[6:7], s[2:3], s9, v76, v[6:7]
	s_mul_i32 s2, s9, 0x1ef
	s_mul_hi_u32 s3, s8, 0x1ef
	s_mul_hi_u32 s5, s8, 0xfffffe7f
	v_mov_b32_e32 v5, v6
	v_lshl_add_u64 v[0:1], v[0:1], 3, v[2:3]
	s_add_i32 s3, s3, s2
	s_mul_i32 s2, s8, 0x1ef
	s_mul_i32 s4, s9, 0xfffffe7f
	s_sub_i32 s5, s5, s8
	v_lshl_add_u64 v[0:1], v[4:5], 3, v[0:1]
	s_lshl_b64 s[10:11], s[2:3], 3
	s_add_i32 s5, s5, s4
	s_mul_i32 s4, s8, 0xfffffe7f
	global_load_dwordx2 v[4:5], v[0:1], off
	v_lshl_add_u64 v[0:1], v[0:1], 0, s[10:11]
	s_lshl_b64 s[8:9], s[4:5], 3
	v_lshl_add_u64 v[74:75], s[16:17], 0, v[72:73]
	v_lshl_add_u64 v[2:3], v[0:1], 0, s[8:9]
	s_movk_i32 s12, 0x1000
	global_load_dwordx2 v[92:93], v72, s[16:17] offset:3960
	global_load_dwordx2 v[94:95], v72, s[16:17]
	global_load_dwordx2 v[90:91], v72, s[16:17] offset:880
	global_load_dwordx2 v[6:7], v[0:1], off
	v_lshl_add_u64 v[0:1], v[2:3], 0, s[10:11]
	global_load_dwordx2 v[8:9], v[2:3], off
	global_load_dwordx2 v[10:11], v[0:1], off
	v_add_co_u32_e32 v2, vcc, s12, v74
	v_lshl_add_u64 v[0:1], v[0:1], 0, s[8:9]
	s_nop 0
	v_addc_co_u32_e32 v3, vcc, 0, v75, vcc
	global_load_dwordx2 v[88:89], v[2:3], off offset:744
	global_load_dwordx2 v[12:13], v[0:1], off
	global_load_dwordx2 v[86:87], v72, s[16:17] offset:1760
	v_lshl_add_u64 v[0:1], v[0:1], 0, s[10:11]
	global_load_dwordx2 v[14:15], v[0:1], off
	global_load_dwordx2 v[82:83], v[2:3], off offset:1624
	v_lshl_add_u64 v[0:1], v[0:1], 0, s[8:9]
	global_load_dwordx2 v[16:17], v[0:1], off
	global_load_dwordx2 v[80:81], v72, s[16:17] offset:2640
	v_lshl_add_u64 v[0:1], v[0:1], 0, s[10:11]
	global_load_dwordx2 v[78:79], v[2:3], off offset:2504
	global_load_dwordx2 v[18:19], v[0:1], off
	s_load_dwordx2 s[10:11], s[0:1], 0x38
	s_load_dwordx4 s[12:15], s[6:7], 0x0
	v_add_u32_e32 v3, 0x1000, v72
	v_add_u32_e32 v2, 0x400, v72
	v_cmp_gt_u16_e64 s[8:9], 55, v76
	s_waitcnt vmcnt(13)
	v_mul_f32_e32 v20, v5, v95
	v_mul_f32_e32 v21, v4, v95
	v_fmac_f32_e32 v20, v4, v94
	v_fma_f32 v21, v5, v94, -v21
	s_waitcnt vmcnt(11)
	v_mul_f32_e32 v4, v7, v93
	v_mul_f32_e32 v5, v6, v93
	v_fmac_f32_e32 v4, v6, v92
	v_fma_f32 v5, v7, v92, -v5
	s_waitcnt vmcnt(10)
	v_mul_f32_e32 v6, v9, v91
	v_mul_f32_e32 v7, v8, v91
	ds_write_b64 v72, v[4:5] offset:3960
	v_fmac_f32_e32 v6, v8, v90
	v_fma_f32 v7, v9, v90, -v7
	s_waitcnt vmcnt(8)
	v_mul_f32_e32 v4, v11, v89
	v_mul_f32_e32 v5, v10, v89
	s_waitcnt vmcnt(4)
	v_mul_f32_e32 v8, v15, v83
	v_mul_f32_e32 v9, v14, v83
	v_fmac_f32_e32 v4, v10, v88
	v_fma_f32 v5, v11, v88, -v5
	v_fmac_f32_e32 v8, v14, v82
	v_fma_f32 v9, v15, v82, -v9
	ds_write2_b64 v72, v[20:21], v[6:7] offset1:110
	v_mul_f32_e32 v6, v13, v87
	v_mul_f32_e32 v7, v12, v87
	s_waitcnt vmcnt(2)
	v_mul_f32_e32 v10, v17, v81
	v_mul_f32_e32 v11, v16, v81
	ds_write2_b64 v3, v[4:5], v[8:9] offset0:93 offset1:203
	s_waitcnt vmcnt(0)
	v_mul_f32_e32 v4, v19, v79
	v_mul_f32_e32 v3, v18, v79
	v_fmac_f32_e32 v6, v12, v86
	v_fma_f32 v7, v13, v86, -v7
	v_fmac_f32_e32 v10, v16, v80
	v_fma_f32 v11, v17, v80, -v11
	;; [unrolled: 2-line block ×3, first 2 shown]
	ds_write2_b64 v2, v[6:7], v[10:11] offset0:92 offset1:202
	ds_write_b64 v72, v[4:5] offset:6600
	s_and_saveexec_b64 s[6:7], s[8:9]
	s_cbranch_execz .LBB0_3
; %bb.2:
	v_lshl_add_u64 v[0:1], s[4:5], 3, v[0:1]
	v_add_co_u32_e32 v8, vcc, 0x1000, v74
	global_load_dwordx2 v[4:5], v[0:1], off
	global_load_dwordx2 v[6:7], v[74:75], off offset:3520
	v_lshl_add_u64 v[0:1], s[2:3], 3, v[0:1]
	v_addc_co_u32_e32 v9, vcc, 0, v75, vcc
	global_load_dwordx2 v[0:1], v[0:1], off
	s_waitcnt vmcnt(1)
	v_mul_f32_e32 v10, v5, v7
	global_load_dwordx2 v[8:9], v[8:9], off offset:3384
	v_mul_f32_e32 v3, v4, v7
	v_fmac_f32_e32 v10, v4, v6
	v_fma_f32 v11, v5, v6, -v3
	ds_write_b64 v72, v[10:11] offset:3520
	s_waitcnt vmcnt(0)
	v_mul_f32_e32 v4, v1, v9
	v_mul_f32_e32 v3, v0, v9
	v_fmac_f32_e32 v4, v0, v8
	v_fma_f32 v5, v1, v8, -v3
	ds_write_b64 v72, v[4:5] offset:7480
.LBB0_3:
	s_or_b64 exec, exec, s[6:7]
	v_add_u32_e32 v0, 0xc00, v72
	v_add_u32_e32 v8, 0x1400, v72
	s_load_dwordx2 s[0:1], s[0:1], 0x8
	s_waitcnt lgkmcnt(0)
	s_barrier
	ds_read2_b64 v[4:7], v72 offset1:110
	ds_read2_b64 v[12:15], v0 offset0:111 offset1:221
	ds_read2_b64 v[0:3], v2 offset0:92 offset1:202
	;; [unrolled: 1-line block ×3, first 2 shown]
                                        ; implicit-def: $vgpr20
                                        ; implicit-def: $vgpr22
	s_and_saveexec_b64 s[2:3], s[8:9]
	s_cbranch_execz .LBB0_5
; %bb.4:
	ds_read_b64 v[20:21], v72 offset:3520
	ds_read_b64 v[22:23], v72 offset:7480
.LBB0_5:
	s_or_b64 exec, exec, s[2:3]
	s_mov_b64 s[2:3], 0x6e
	v_lshl_add_u64 v[16:17], v[76:77], 0, s[2:3]
	s_mov_b64 s[2:3], 0xdc
	v_lshl_add_u64 v[18:19], v[76:77], 0, s[2:3]
	s_mov_b64 s[2:3], 0x1b8
	s_waitcnt lgkmcnt(2)
	v_pk_add_f32 v[12:13], v[4:5], v[12:13] neg_lo:[0,1] neg_hi:[0,1]
	s_waitcnt lgkmcnt(0)
	v_pk_add_f32 v[24:25], v[2:3], v[10:11] neg_lo:[0,1] neg_hi:[0,1]
	v_lshlrev_b16_e32 v10, 1, v76
	v_lshl_add_u64 v[26:27], v[76:77], 0, s[2:3]
	v_pk_add_f32 v[14:15], v[6:7], v[14:15] neg_lo:[0,1] neg_hi:[0,1]
	v_pk_add_f32 v[8:9], v[0:1], v[8:9] neg_lo:[0,1] neg_hi:[0,1]
	v_lshlrev_b32_e32 v77, 3, v10
	v_pk_fma_f32 v[10:11], v[4:5], 2.0, v[12:13] op_sel_hi:[1,0,1] neg_lo:[0,0,1] neg_hi:[0,0,1]
	v_lshlrev_b32_e32 v188, 4, v76
	v_pk_add_f32 v[32:33], v[20:21], v[22:23] neg_lo:[0,1] neg_hi:[0,1]
	s_barrier
	ds_write_b128 v77, v[10:13]
	v_lshlrev_b32_e32 v85, 4, v16
	v_pk_fma_f32 v[12:13], v[6:7], 2.0, v[14:15] op_sel_hi:[1,0,1] neg_lo:[0,0,1] neg_hi:[0,0,1]
	v_lshlrev_b32_e32 v184, 4, v18
	v_pk_fma_f32 v[6:7], v[0:1], 2.0, v[8:9] op_sel_hi:[1,0,1] neg_lo:[0,0,1] neg_hi:[0,0,1]
	v_pk_fma_f32 v[22:23], v[2:3], 2.0, v[24:25] op_sel_hi:[1,0,1] neg_lo:[0,0,1] neg_hi:[0,0,1]
	v_lshlrev_b32_e32 v73, 4, v26
	ds_write_b128 v85, v[12:15]
	ds_write_b128 v184, v[6:9]
	ds_write_b128 v188, v[22:25] offset:5280
	s_and_saveexec_b64 s[2:3], s[8:9]
	s_cbranch_execz .LBB0_7
; %bb.6:
	v_pk_fma_f32 v[30:31], v[20:21], 2.0, v[32:33] op_sel_hi:[1,0,1] neg_lo:[0,0,1] neg_hi:[0,0,1]
	ds_write_b128 v73, v[30:33]
.LBB0_7:
	s_or_b64 exec, exec, s[2:3]
	v_and_b32_e32 v17, 1, v76
	v_lshlrev_b32_e32 v0, 4, v17
	s_waitcnt lgkmcnt(0)
	s_barrier
	global_load_dwordx4 v[0:3], v0, s[0:1]
	v_lshrrev_b32_e32 v8, 1, v76
	v_lshrrev_b32_e32 v9, 1, v16
	;; [unrolled: 1-line block ×3, first 2 shown]
	v_add_u32_e32 v42, 0x400, v72
	v_add_u32_e32 v49, 0xc00, v72
	ds_read_b64 v[24:25], v72 offset:7040
	ds_read2_b64 v[4:7], v72 offset1:110
	v_add_u32_e32 v43, 0x1400, v72
	v_mul_u32_u24_e32 v19, 6, v8
	v_mul_u32_u24_e32 v26, 6, v9
	;; [unrolled: 1-line block ×3, first 2 shown]
	ds_read2_b64 v[8:11], v42 offset0:92 offset1:202
	ds_read2_b64 v[12:15], v49 offset0:56 offset1:166
	;; [unrolled: 1-line block ×3, first 2 shown]
	v_or_b32_e32 v26, v26, v17
	v_or_b32_e32 v19, v19, v17
	v_or_b32_e32 v17, v27, v17
	v_lshlrev_b32_e32 v186, 3, v26
	s_mov_b32 s2, 0x3f5db3d7
	v_lshlrev_b32_e32 v187, 3, v19
	s_waitcnt lgkmcnt(0)
	s_barrier
	v_lshlrev_b32_e32 v185, 3, v17
	s_movk_i32 s4, 0x57
	v_cmp_lt_u16_e64 s[4:5], s4, v76
	s_waitcnt vmcnt(0)
	v_pk_mul_f32 v[26:27], v[14:15], v[0:1] op_sel:[0,1]
	v_mov_b32_e32 v28, v3
	v_pk_mul_f32 v[30:31], v[12:13], v[0:1] op_sel:[0,1]
	v_pk_mul_f32 v[34:35], v[10:11], v[0:1] op_sel:[0,1]
	v_pk_fma_f32 v[36:37], v[14:15], v[0:1], v[26:27] op_sel:[0,0,1] op_sel_hi:[1,1,0] neg_lo:[0,0,1] neg_hi:[0,0,1]
	v_pk_fma_f32 v[14:15], v[14:15], v[0:1], v[26:27] op_sel:[0,0,1] op_sel_hi:[1,0,0]
	v_pk_mul_f32 v[26:27], v[24:25], v[28:29] op_sel_hi:[1,0]
	v_pk_fma_f32 v[38:39], v[12:13], v[0:1], v[30:31] op_sel:[0,0,1] op_sel_hi:[1,1,0] neg_lo:[0,0,1] neg_hi:[0,0,1]
	v_pk_fma_f32 v[12:13], v[12:13], v[0:1], v[30:31] op_sel:[0,0,1] op_sel_hi:[1,0,0]
	v_pk_mul_f32 v[30:31], v[22:23], v[28:29] op_sel_hi:[1,0]
	;; [unrolled: 3-line block ×3, first 2 shown]
	v_mov_b32_e32 v41, v11
	v_pk_fma_f32 v[10:11], v[20:21], v[2:3], v[28:29] op_sel:[0,0,1] op_sel_hi:[1,1,0] neg_lo:[0,0,1] neg_hi:[0,0,1]
	v_pk_fma_f32 v[20:21], v[20:21], v[2:3], v[28:29] op_sel:[0,0,1] op_sel_hi:[1,0,0]
	v_mov_b32_e32 v37, v15
	v_pk_fma_f32 v[14:15], v[24:25], v[2:3], v[26:27] op_sel:[0,0,1] op_sel_hi:[1,1,0] neg_lo:[0,0,1] neg_hi:[0,0,1]
	v_pk_fma_f32 v[24:25], v[24:25], v[2:3], v[26:27] op_sel:[0,0,1] op_sel_hi:[1,0,0]
	;; [unrolled: 3-line block ×3, first 2 shown]
	v_mov_b32_e32 v11, v21
	v_pk_add_f32 v[20:21], v[4:5], v[40:41]
	v_mov_b32_e32 v15, v25
	v_pk_add_f32 v[24:25], v[8:9], v[36:37]
	;; [unrolled: 2-line block ×3, first 2 shown]
	v_pk_add_f32 v[20:21], v[20:21], v[10:11]
	v_pk_add_f32 v[26:27], v[40:41], v[10:11]
	v_pk_add_f32 v[10:11], v[40:41], v[10:11] neg_lo:[0,1] neg_hi:[0,1]
	v_pk_add_f32 v[24:25], v[24:25], v[14:15]
	v_pk_add_f32 v[22:23], v[22:23], v[12:13]
	;; [unrolled: 1-line block ×3, first 2 shown]
	v_pk_add_f32 v[12:13], v[38:39], v[12:13] neg_lo:[0,1] neg_hi:[0,1]
	v_pk_add_f32 v[30:31], v[36:37], v[14:15]
	v_pk_add_f32 v[14:15], v[36:37], v[14:15] neg_lo:[0,1] neg_hi:[0,1]
	v_pk_fma_f32 v[4:5], v[26:27], 0.5, v[4:5] op_sel_hi:[1,0,1] neg_lo:[1,0,0] neg_hi:[1,0,0]
	v_pk_mul_f32 v[10:11], v[10:11], s[2:3] op_sel_hi:[1,0]
	v_pk_fma_f32 v[6:7], v[28:29], 0.5, v[6:7] op_sel_hi:[1,0,1] neg_lo:[1,0,0] neg_hi:[1,0,0]
	v_pk_mul_f32 v[12:13], v[12:13], s[2:3] op_sel_hi:[1,0]
	;; [unrolled: 2-line block ×3, first 2 shown]
	v_pk_add_f32 v[26:27], v[4:5], v[10:11] op_sel:[0,1] op_sel_hi:[1,0]
	v_pk_add_f32 v[4:5], v[4:5], v[10:11] op_sel:[0,1] op_sel_hi:[1,0] neg_lo:[0,1] neg_hi:[0,1]
	v_pk_add_f32 v[10:11], v[6:7], v[12:13] op_sel:[0,1] op_sel_hi:[1,0]
	v_pk_add_f32 v[6:7], v[6:7], v[12:13] op_sel:[0,1] op_sel_hi:[1,0] neg_lo:[0,1] neg_hi:[0,1]
	;; [unrolled: 2-line block ×3, first 2 shown]
	v_mov_b32_e32 v14, v26
	v_mov_b32_e32 v15, v5
	s_movk_i32 s3, 0xab
	v_mov_b32_e32 v5, v27
	v_mov_b32_e32 v26, v10
	;; [unrolled: 1-line block ×6, first 2 shown]
	ds_write2_b64 v187, v[20:21], v[14:15] offset1:2
	ds_write_b64 v187, v[4:5] offset:32
	ds_write2_b64 v186, v[22:23], v[26:27] offset1:2
	ds_write_b64 v186, v[6:7] offset:32
	ds_write2_b64 v185, v[24:25], v[10:11] offset1:2
	v_mul_lo_u16_sdwa v4, v76, s3 dst_sel:DWORD dst_unused:UNUSED_PAD src0_sel:BYTE_0 src1_sel:DWORD
	v_lshrrev_b16_e32 v17, 10, v4
	v_mul_lo_u16_sdwa v4, v16, s3 dst_sel:DWORD dst_unused:UNUSED_PAD src0_sel:BYTE_0 src1_sel:DWORD
	v_lshrrev_b16_e32 v55, 10, v4
	v_mul_lo_u16_e32 v4, 6, v55
	v_sub_u16_e32 v4, v16, v4
	s_mov_b32 s3, 0xaaab
	v_and_b32_e32 v58, 0xff, v4
	v_mul_u32_u24_sdwa v4, v18, s3 dst_sel:DWORD dst_unused:UNUSED_PAD src0_sel:WORD_0 src1_sel:DWORD
	v_lshrrev_b32_e32 v59, 18, v4
	v_mul_lo_u16_e32 v4, 6, v59
	v_sub_u16_e32 v60, v18, v4
	v_lshlrev_b16_e32 v4, 4, v60
	v_mov_b32_e32 v5, 0
	v_mov_b32_e32 v9, v13
	v_lshlrev_b32_e32 v6, 4, v58
	v_lshl_add_u64 v[4:5], s[0:1], 0, v[4:5]
	ds_write_b64 v185, v[8:9] offset:32
	s_waitcnt lgkmcnt(0)
	s_barrier
	global_load_dwordx4 v[12:15], v6, s[0:1] offset:32
	global_load_dwordx4 v[8:11], v[4:5], off offset:32
	v_mul_lo_u16_e32 v4, 6, v17
	v_sub_u16_e32 v4, v76, v4
	v_and_b32_e32 v18, 0xff, v4
	v_lshlrev_b32_e32 v4, 4, v18
	global_load_dwordx4 v[4:7], v4, s[0:1] offset:32
	v_mul_u32_u24_e32 v17, 18, v17
	v_add_lshl_u32 v191, v17, v18, 3
	ds_read2_b64 v[18:21], v49 offset0:56 offset1:166
	ds_read2_b64 v[22:25], v43 offset0:20 offset1:130
	ds_read2_b64 v[26:29], v72 offset1:110
	ds_read2_b64 v[34:37], v42 offset0:92 offset1:202
	ds_read_b64 v[30:31], v72 offset:7040
	s_waitcnt lgkmcnt(0)
	s_barrier
	v_mul_u32_u24_e32 v17, 18, v55
	v_add_lshl_u32 v192, v17, v58, 3
	v_mad_legacy_u16 v17, v59, 18, v60
	v_lshlrev_b32_e32 v193, 3, v17
	s_waitcnt vmcnt(2)
	v_pk_mul_f32 v[38:39], v[18:19], v[12:13] op_sel:[0,1]
	v_mov_b32_e32 v40, v15
	s_waitcnt vmcnt(1)
	v_pk_mul_f32 v[42:43], v[20:21], v[8:9] op_sel_hi:[1,0]
	v_mov_b32_e32 v44, v9
	v_pk_mul_f32 v[46:47], v[30:31], v[10:11] op_sel_hi:[1,0]
	v_mov_b32_e32 v48, v11
	v_mov_b32_e32 v50, v11
	s_waitcnt vmcnt(0)
	v_pk_mul_f32 v[52:53], v[36:37], v[4:5] op_sel:[0,1]
	v_mov_b32_e32 v54, v7
	v_pk_fma_f32 v[56:57], v[18:19], v[12:13], v[38:39] op_sel:[0,0,1] op_sel_hi:[1,1,0] neg_lo:[0,0,1] neg_hi:[0,0,1]
	v_pk_fma_f32 v[18:19], v[18:19], v[12:13], v[38:39] op_sel:[0,0,1] op_sel_hi:[1,0,0]
	v_pk_mul_f32 v[40:41], v[24:25], v[40:41] op_sel_hi:[1,0]
	v_pk_fma_f32 v[38:39], v[20:21], v[44:45], v[42:43] op_sel:[0,0,1] op_sel_hi:[1,1,0]
	v_pk_fma_f32 v[20:21], v[20:21], v[8:9], v[42:43] op_sel:[0,1,1] op_sel_hi:[1,1,0] neg_lo:[1,0,0] neg_hi:[1,0,0]
	v_pk_fma_f32 v[42:43], v[30:31], v[48:49], v[46:47] op_sel:[0,0,1] op_sel_hi:[1,1,0]
	v_pk_fma_f32 v[30:31], v[30:31], v[50:51], v[46:47] op_sel:[0,0,1] op_sel_hi:[1,0,0] neg_lo:[1,0,0] neg_hi:[1,0,0]
	v_pk_fma_f32 v[46:47], v[36:37], v[4:5], v[52:53] op_sel:[0,0,1] op_sel_hi:[1,1,0] neg_lo:[0,0,1] neg_hi:[0,0,1]
	v_pk_fma_f32 v[36:37], v[36:37], v[4:5], v[52:53] op_sel:[0,0,1] op_sel_hi:[1,0,0]
	v_pk_mul_f32 v[44:45], v[22:23], v[54:55] op_sel_hi:[1,0]
	v_mov_b32_e32 v57, v19
	v_pk_fma_f32 v[18:19], v[24:25], v[14:15], v[40:41] op_sel:[0,0,1] op_sel_hi:[1,1,0] neg_lo:[0,0,1] neg_hi:[0,0,1]
	v_pk_fma_f32 v[24:25], v[24:25], v[14:15], v[40:41] op_sel:[0,0,1] op_sel_hi:[1,0,0]
	v_mov_b32_e32 v39, v21
	v_mov_b32_e32 v43, v31
	;; [unrolled: 1-line block ×7, first 2 shown]
	v_pk_fma_f32 v[40:41], v[22:23], v[6:7], v[44:45] op_sel:[0,0,1] op_sel_hi:[1,1,0] neg_lo:[0,0,1] neg_hi:[0,0,1]
	v_pk_fma_f32 v[22:23], v[22:23], v[6:7], v[44:45] op_sel:[0,0,1] op_sel_hi:[1,0,0]
	v_mov_b32_e32 v19, v25
	v_pk_add_f32 v[24:25], v[20:21], v[30:31]
	v_pk_add_f32 v[38:39], v[38:39], v[42:43] neg_lo:[0,1] neg_hi:[0,1]
	v_pk_add_f32 v[20:21], v[34:35], v[20:21]
	v_mov_b32_e32 v41, v23
	v_pk_add_f32 v[22:23], v[26:27], v[46:47]
	v_pk_add_f32 v[42:43], v[56:57], v[18:19]
	v_pk_add_f32 v[44:45], v[56:57], v[18:19] neg_lo:[0,1] neg_hi:[0,1]
	v_pk_fma_f32 v[24:25], v[24:25], 0.5, v[34:35] op_sel_hi:[1,0,1] neg_lo:[1,0,0] neg_hi:[1,0,0]
	v_pk_add_f32 v[36:37], v[20:21], v[30:31]
	v_pk_add_f32 v[20:21], v[22:23], v[40:41]
	v_pk_fma_f32 v[22:23], v[42:43], 0.5, v[28:29] op_sel_hi:[1,0,1] neg_lo:[1,0,0] neg_hi:[1,0,0]
	v_pk_mul_f32 v[30:31], v[44:45], s[2:3] op_sel_hi:[1,0]
	v_pk_fma_f32 v[44:45], v[38:39], s[2:3], v[24:25] op_sel_hi:[1,0,1] neg_lo:[1,0,0] neg_hi:[1,0,0]
	v_pk_fma_f32 v[50:51], v[38:39], s[2:3], v[24:25] op_sel_hi:[1,0,1]
	v_pk_add_f32 v[24:25], v[22:23], v[30:31] op_sel:[0,1] op_sel_hi:[1,0] neg_lo:[0,1] neg_hi:[0,1]
	v_pk_add_f32 v[22:23], v[22:23], v[30:31] op_sel:[0,1] op_sel_hi:[1,0]
	v_pk_add_f32 v[30:31], v[46:47], v[40:41]
	v_mov_b32_e32 v35, v23
	v_pk_fma_f32 v[26:27], v[30:31], 0.5, v[26:27] op_sel_hi:[1,0,1] neg_lo:[1,0,0] neg_hi:[1,0,0]
	v_pk_add_f32 v[30:31], v[46:47], v[40:41] neg_lo:[0,1] neg_hi:[0,1]
	v_mov_b32_e32 v23, v25
	v_pk_mul_f32 v[30:31], v[30:31], s[2:3] op_sel_hi:[1,0]
	v_mov_b32_e32 v34, v24
	v_pk_add_f32 v[38:39], v[26:27], v[30:31] op_sel:[0,1] op_sel_hi:[1,0]
	v_pk_add_f32 v[26:27], v[26:27], v[30:31] op_sel:[0,1] op_sel_hi:[1,0] neg_lo:[0,1] neg_hi:[0,1]
	v_mov_b32_e32 v30, v38
	v_mov_b32_e32 v31, v27
	ds_write2_b64 v191, v[20:21], v[30:31] offset1:6
	v_pk_add_f32 v[20:21], v[28:29], v[56:57]
	v_mov_b32_e32 v27, v39
	v_pk_add_f32 v[18:19], v[20:21], v[18:19]
	ds_write_b64 v191, v[26:27] offset:96
	ds_write2_b64 v192, v[18:19], v[22:23] offset1:6
	ds_write_b64 v192, v[34:35] offset:96
	v_mov_b32_e32 v18, v50
	v_mov_b32_e32 v19, v45
	ds_write2_b64 v193, v[36:37], v[18:19] offset1:6
	v_mov_b32_e32 v18, v44
	v_mov_b32_e32 v19, v51
	ds_write_b64 v193, v[18:19] offset:96
	s_waitcnt lgkmcnt(0)
	s_barrier
	ds_read2_b64 v[38:41], v72 offset1:198
	ds_read2_b64 v[46:49], v49 offset0:12 offset1:210
	ds_read_b64 v[52:53], v72 offset:6336
	s_movk_i32 s2, 0x58
	v_cmp_gt_u16_e64 s[2:3], s2, v76
	s_and_saveexec_b64 s[6:7], s[4:5]
	s_xor_b64 s[6:7], exec, s[6:7]
	s_andn2_saveexec_b64 s[6:7], s[6:7]
	s_cbranch_execz .LBB0_9
; %bb.8:
	v_add_u32_e32 v17, 0xf00, v72
	ds_read2_b64 v[42:45], v17 offset0:26 offset1:224
	v_add_u32_e32 v17, 0x200, v72
	ds_read_b64 v[32:33], v72 offset:7216
	ds_read2_b64 v[34:37], v17 offset0:46 offset1:244
	s_waitcnt lgkmcnt(2)
	v_mov_b32_e32 v50, v42
	v_mov_b32_e32 v51, v45
	v_mov_b32_e32 v45, v43
.LBB0_9:
	s_or_b64 exec, exec, s[6:7]
	v_mov_b32_e32 v17, 57
	v_mul_lo_u16_sdwa v18, v76, v17 dst_sel:DWORD dst_unused:UNUSED_PAD src0_sel:BYTE_0 src1_sel:DWORD
	v_lshrrev_b16_e32 v102, 10, v18
	v_mul_lo_u16_sdwa v17, v16, v17 dst_sel:DWORD dst_unused:UNUSED_PAD src0_sel:BYTE_0 src1_sel:DWORD
	v_mul_lo_u16_e32 v18, 18, v102
	v_lshrrev_b16_e32 v189, 10, v17
	v_sub_u16_e32 v18, v76, v18
	v_mul_lo_u16_e32 v17, 18, v189
	v_and_b32_e32 v103, 0xff, v18
	v_sub_u16_e32 v16, v16, v17
	v_lshlrev_b32_e32 v18, 5, v103
	v_and_b32_e32 v190, 0xff, v16
	global_load_dwordx4 v[24:27], v18, s[0:1] offset:128
	global_load_dwordx4 v[28:31], v18, s[0:1] offset:144
	v_lshlrev_b32_e32 v42, 5, v190
	global_load_dwordx4 v[20:23], v42, s[0:1] offset:128
	global_load_dwordx4 v[16:19], v42, s[0:1] offset:144
	s_mov_b32 s18, 0x3f737871
	s_mov_b32 s20, 0x3f167918
	;; [unrolled: 1-line block ×3, first 2 shown]
	s_waitcnt lgkmcnt(0)
	s_barrier
	s_waitcnt vmcnt(3)
	v_mov_b32_e32 v42, v27
	s_waitcnt vmcnt(2)
	v_pk_mul_f32 v[54:55], v[48:49], v[28:29] op_sel:[0,1]
	v_mov_b32_e32 v56, v31
	v_pk_mul_f32 v[58:59], v[40:41], v[24:25] op_sel:[0,1]
	s_waitcnt vmcnt(0)
	v_pk_mul_f32 v[64:65], v[50:51], v[16:17] op_sel:[1,0]
	v_pk_mul_f32 v[66:67], v[32:33], v[18:19] op_sel:[1,0]
	v_pk_mul_f32 v[42:43], v[46:47], v[42:43] op_sel_hi:[1,0]
	v_pk_fma_f32 v[68:69], v[48:49], v[28:29], v[54:55] op_sel:[0,0,1] op_sel_hi:[1,1,0] neg_lo:[0,0,1] neg_hi:[0,0,1]
	v_pk_fma_f32 v[48:49], v[48:49], v[28:29], v[54:55] op_sel:[0,0,1] op_sel_hi:[1,0,0]
	v_pk_mul_f32 v[54:55], v[52:53], v[56:57] op_sel_hi:[1,0]
	v_pk_fma_f32 v[56:57], v[40:41], v[24:25], v[58:59] op_sel:[0,0,1] op_sel_hi:[1,1,0] neg_lo:[0,0,1] neg_hi:[0,0,1]
	v_pk_fma_f32 v[40:41], v[40:41], v[24:25], v[58:59] op_sel:[0,0,1] op_sel_hi:[1,0,0]
	v_pk_mul_f32 v[62:63], v[44:45], v[22:23] op_sel:[1,0]
	v_pk_fma_f32 v[98:99], v[44:45], v[16:17], v[64:65] op_sel:[0,0,1] op_sel_hi:[1,1,0] neg_lo:[0,0,1] neg_hi:[0,0,1]
	v_pk_fma_f32 v[44:45], v[44:45], v[16:17], v[64:65] op_sel:[0,0,1] op_sel_hi:[0,1,0]
	v_pk_fma_f32 v[64:65], v[32:33], v[18:19], v[66:67] op_sel:[0,0,1] op_sel_hi:[1,1,0] neg_lo:[0,0,1] neg_hi:[0,0,1]
	v_pk_fma_f32 v[32:33], v[32:33], v[18:19], v[66:67] op_sel:[0,0,1] op_sel_hi:[0,1,0]
	;; [unrolled: 2-line block ×3, first 2 shown]
	v_mov_b32_e32 v69, v49
	v_pk_fma_f32 v[46:47], v[52:53], v[30:31], v[54:55] op_sel:[0,0,1] op_sel_hi:[1,1,0] neg_lo:[0,0,1] neg_hi:[0,0,1]
	v_pk_fma_f32 v[48:49], v[52:53], v[30:31], v[54:55] op_sel:[0,0,1] op_sel_hi:[1,0,0]
	v_mov_b32_e32 v57, v41
	v_mov_b32_e32 v65, v33
	;; [unrolled: 1-line block ×4, first 2 shown]
	v_pk_add_f32 v[32:33], v[38:39], v[56:57]
	v_pk_mul_f32 v[60:61], v[36:37], v[20:21] op_sel:[1,0]
	v_pk_fma_f32 v[96:97], v[50:51], v[22:23], v[62:63] op_sel:[0,0,1] op_sel_hi:[1,1,0] neg_lo:[0,0,1] neg_hi:[0,0,1]
	v_pk_fma_f32 v[50:51], v[50:51], v[22:23], v[62:63] op_sel:[0,0,1] op_sel_hi:[0,1,0]
	v_mov_b32_e32 v99, v45
	v_pk_add_f32 v[44:45], v[58:59], v[68:69]
	v_pk_add_f32 v[48:49], v[56:57], v[46:47] neg_lo:[0,1] neg_hi:[0,1]
	v_pk_add_f32 v[32:33], v[32:33], v[58:59]
	v_pk_fma_f32 v[70:71], v[36:37], v[20:21], v[60:61] op_sel:[0,0,1] op_sel_hi:[1,1,0] neg_lo:[0,0,1] neg_hi:[0,0,1]
	v_pk_fma_f32 v[36:37], v[36:37], v[20:21], v[60:61] op_sel:[0,0,1] op_sel_hi:[0,1,0]
	v_mov_b32_e32 v97, v51
	v_pk_add_f32 v[50:51], v[58:59], v[68:69] neg_lo:[0,1] neg_hi:[0,1]
	v_pk_add_f32 v[52:53], v[56:57], v[58:59] neg_lo:[0,1] neg_hi:[0,1]
	;; [unrolled: 1-line block ×3, first 2 shown]
	v_pk_add_f32 v[60:61], v[56:57], v[46:47]
	v_pk_fma_f32 v[44:45], v[44:45], 0.5, v[38:39] op_sel_hi:[1,0,1] neg_lo:[1,0,0] neg_hi:[1,0,0]
	v_pk_mul_f32 v[62:63], v[48:49], s[18:19] op_sel_hi:[1,0]
	v_pk_add_f32 v[32:33], v[32:33], v[68:69]
	v_pk_mul_f32 v[66:67], v[50:51], s[20:21] op_sel_hi:[1,0]
	v_pk_add_f32 v[100:101], v[52:53], v[54:55]
	v_pk_fma_f32 v[38:39], v[60:61], 0.5, v[38:39] op_sel_hi:[1,0,1] neg_lo:[1,0,0] neg_hi:[1,0,0]
	v_pk_mul_f32 v[50:51], v[50:51], s[18:19] op_sel_hi:[1,0]
	v_pk_add_f32 v[52:53], v[32:33], v[46:47]
	v_pk_add_f32 v[32:33], v[44:45], v[62:63] op_sel:[0,1] op_sel_hi:[1,0]
	v_pk_add_f32 v[44:45], v[44:45], v[62:63] op_sel:[0,1] op_sel_hi:[1,0] neg_lo:[0,1] neg_hi:[0,1]
	v_pk_add_f32 v[56:57], v[58:59], v[56:57] neg_lo:[0,1] neg_hi:[0,1]
	v_pk_add_f32 v[58:59], v[68:69], v[46:47] neg_lo:[0,1] neg_hi:[0,1]
	v_pk_mul_f32 v[48:49], v[48:49], s[20:21] op_sel_hi:[1,0]
	v_pk_add_f32 v[46:47], v[38:39], v[50:51] op_sel:[0,1] op_sel_hi:[1,0] neg_lo:[0,1] neg_hi:[0,1]
	v_pk_add_f32 v[38:39], v[38:39], v[50:51] op_sel:[0,1] op_sel_hi:[1,0]
	v_pk_add_f32 v[44:45], v[44:45], v[66:67] op_sel:[0,1] op_sel_hi:[1,0] neg_lo:[0,1] neg_hi:[0,1]
	v_pk_add_f32 v[32:33], v[32:33], v[66:67] op_sel:[0,1] op_sel_hi:[1,0]
	v_mov_b32_e32 v71, v37
	v_pk_add_f32 v[38:39], v[38:39], v[48:49] op_sel:[0,1] op_sel_hi:[1,0] neg_lo:[0,1] neg_hi:[0,1]
	v_pk_add_f32 v[46:47], v[46:47], v[48:49] op_sel:[0,1] op_sel_hi:[1,0]
	v_mov_b32_e32 v49, v45
	v_mov_b32_e32 v45, v33
	v_pk_add_f32 v[58:59], v[56:57], v[58:59]
	v_mov_b32_e32 v48, v32
	v_mov_b32_e32 v32, v46
	;; [unrolled: 1-line block ×4, first 2 shown]
	v_pk_fma_f32 v[56:57], v[100:101], s[6:7], v[44:45] op_sel_hi:[1,0,1]
	v_pk_add_f32 v[44:45], v[96:97], v[70:71] neg_lo:[0,1] neg_hi:[0,1]
	v_pk_add_f32 v[46:47], v[98:99], v[64:65] neg_lo:[0,1] neg_hi:[0,1]
	v_pk_add_f32 v[42:43], v[70:71], v[64:65]
	v_pk_add_f32 v[44:45], v[44:45], v[46:47]
	;; [unrolled: 1-line block ×3, first 2 shown]
	v_pk_add_f32 v[40:41], v[96:97], v[98:99] neg_lo:[0,1] neg_hi:[0,1]
	v_pk_add_f32 v[46:47], v[46:47], v[96:97]
	v_pk_fma_f32 v[42:43], v[42:43], 0.5, v[34:35] op_sel_hi:[1,0,1] neg_lo:[1,0,0] neg_hi:[1,0,0]
	v_pk_add_f32 v[46:47], v[46:47], v[98:99]
	v_pk_fma_f32 v[60:61], v[58:59], s[6:7], v[32:33] op_sel_hi:[1,0,1]
	v_pk_fma_f32 v[62:63], v[58:59], s[6:7], v[38:39] op_sel_hi:[1,0,1]
	v_pk_add_f32 v[58:59], v[46:47], v[64:65]
	v_pk_add_f32 v[46:47], v[96:97], v[98:99]
	v_pk_add_f32 v[36:37], v[70:71], v[64:65] neg_lo:[0,1] neg_hi:[0,1]
	v_pk_fma_f32 v[68:69], v[40:41], s[18:19], v[42:43] op_sel:[1,0,0] op_sel_hi:[0,0,1] neg_lo:[1,0,0] neg_hi:[1,0,0]
	v_pk_fma_f32 v[54:55], v[100:101], s[6:7], v[48:49] op_sel_hi:[1,0,1]
	v_pk_fma_f32 v[32:33], v[40:41], s[18:19], v[42:43] op_sel:[1,0,0] op_sel_hi:[0,0,1]
	v_pk_fma_f32 v[34:35], v[46:47], 0.5, v[34:35] op_sel_hi:[1,0,1] neg_lo:[1,0,0] neg_hi:[1,0,0]
	v_pk_add_f32 v[46:47], v[70:71], v[96:97] neg_lo:[0,1] neg_hi:[0,1]
	v_pk_add_f32 v[48:49], v[64:65], v[98:99] neg_lo:[0,1] neg_hi:[0,1]
	v_pk_fma_f32 v[32:33], v[36:37], s[20:21], v[32:33] op_sel:[1,0,0] op_sel_hi:[0,0,1] neg_lo:[1,0,0] neg_hi:[1,0,0]
	v_pk_fma_f32 v[38:39], v[36:37], s[20:21], v[68:69] op_sel:[1,0,0] op_sel_hi:[0,0,1]
	v_pk_add_f32 v[46:47], v[46:47], v[48:49]
	v_pk_fma_f32 v[48:49], v[36:37], s[18:19], v[34:35] op_sel:[1,0,0] op_sel_hi:[0,0,1] neg_lo:[1,0,0] neg_hi:[1,0,0]
	v_pk_fma_f32 v[34:35], v[36:37], s[18:19], v[34:35] op_sel:[1,0,0] op_sel_hi:[0,0,1]
	v_mov_b32_e32 v43, v33
	v_pk_fma_f32 v[34:35], v[40:41], s[20:21], v[34:35] op_sel:[1,0,0] op_sel_hi:[0,0,1]
	v_pk_fma_f32 v[36:37], v[40:41], s[20:21], v[48:49] op_sel:[1,0,0] op_sel_hi:[0,0,1] neg_lo:[1,0,0] neg_hi:[1,0,0]
	v_mov_b32_e32 v33, v39
	v_mov_b32_e32 v42, v38
	;; [unrolled: 1-line block ×5, first 2 shown]
	v_pk_fma_f32 v[68:69], v[44:45], s[6:7], v[32:33] op_sel_hi:[1,0,1]
	v_mul_u32_u24_e32 v32, 0x5a, v102
	v_pk_fma_f32 v[64:65], v[46:47], s[6:7], v[34:35] op_sel_hi:[1,0,1]
	v_pk_fma_f32 v[70:71], v[46:47], s[6:7], v[40:41] op_sel_hi:[1,0,1]
	;; [unrolled: 1-line block ×3, first 2 shown]
	s_movk_i32 s18, 0x5a
	v_add_lshl_u32 v194, v32, v103, 3
	ds_write2_b64 v194, v[52:53], v[54:55] offset1:18
	ds_write2_b64 v194, v[60:61], v[62:63] offset0:36 offset1:54
	ds_write_b64 v194, v[56:57] offset:576
	s_and_saveexec_b64 s[6:7], s[2:3]
	s_cbranch_execz .LBB0_11
; %bb.10:
	v_mul_u32_u24_e32 v32, 0x5a, v189
	v_add_lshl_u32 v32, v32, v190, 3
	ds_write2_b64 v32, v[58:59], v[64:65] offset1:18
	ds_write2_b64 v32, v[66:67], v[68:69] offset0:36 offset1:54
	ds_write_b64 v32, v[70:71] offset:576
.LBB0_11:
	s_or_b64 exec, exec, s[6:7]
	v_cmp_gt_u16_e64 s[6:7], s18, v76
	s_waitcnt lgkmcnt(0)
	s_barrier
	s_waitcnt lgkmcnt(0)
                                        ; implicit-def: $vgpr96
                                        ; implicit-def: $vgpr98
	s_and_saveexec_b64 s[18:19], s[6:7]
	s_cbranch_execz .LBB0_13
; %bb.12:
	v_add_u32_e32 v32, 0x400, v72
	ds_read2_b64 v[60:63], v32 offset0:52 offset1:142
	v_add_u32_e32 v32, 0x800, v72
	ds_read2_b64 v[56:59], v32 offset0:104 offset1:194
	v_add_u32_e32 v32, 0x1000, v72
	ds_read2_b64 v[52:55], v72 offset1:90
	ds_read2_b64 v[64:67], v32 offset0:28 offset1:118
	v_add_u32_e32 v32, 0x1400, v72
	ds_read_b64 v[96:97], v72 offset:7200
	ds_read2_b64 v[68:71], v32 offset0:80 offset1:170
	s_waitcnt lgkmcnt(1)
	v_mov_b32_e32 v98, v97
.LBB0_13:
	s_or_b64 exec, exec, s[18:19]
	v_add_u32_e32 v32, 0xffffffa6, v76
	v_cndmask_b32_e64 v32, v32, v76, s[6:7]
	v_mul_hi_i32_i24_e32 v33, 0x50, v32
	v_mul_i32_i24_e32 v32, 0x50, v32
	v_lshl_add_u64 v[100:101], s[0:1], 0, v[32:33]
	global_load_dwordx4 v[32:35], v[100:101], off offset:704
	global_load_dwordx4 v[40:43], v[100:101], off offset:720
	;; [unrolled: 1-line block ×5, first 2 shown]
	s_mov_b32 s26, 0xbf0a6770
	s_mov_b32 s0, 0x3f575c64
	;; [unrolled: 1-line block ×13, first 2 shown]
	s_waitcnt vmcnt(4)
	v_pk_mul_f32 v[100:101], v[54:55], v[32:33] op_sel:[1,0]
	v_pk_mul_f32 v[102:103], v[60:61], v[34:35] op_sel:[1,0]
	s_waitcnt vmcnt(3)
	v_pk_mul_f32 v[104:105], v[62:63], v[40:41] op_sel:[1,0]
	v_pk_mul_f32 v[106:107], v[56:57], v[42:43] op_sel:[1,0]
	;; [unrolled: 3-line block ×3, first 2 shown]
	s_waitcnt vmcnt(1)
	v_pk_mul_f32 v[112:113], v[66:67], v[44:45] op_sel:[1,0]
	s_waitcnt vmcnt(0)
	v_pk_mul_f32 v[118:119], v[98:99], v[50:51] op_sel_hi:[0,1]
	s_waitcnt lgkmcnt(0)
	v_pk_mul_f32 v[116:117], v[70:71], v[48:49] op_sel:[1,0]
	v_pk_fma_f32 v[98:99], v[54:55], v[32:33], v[100:101] op_sel:[0,0,1] op_sel_hi:[1,1,0] neg_lo:[0,0,1] neg_hi:[0,0,1]
	v_pk_fma_f32 v[54:55], v[54:55], v[32:33], v[100:101] op_sel:[0,0,1] op_sel_hi:[0,1,0]
	v_pk_fma_f32 v[100:101], v[60:61], v[34:35], v[102:103] op_sel:[0,0,1] op_sel_hi:[1,1,0] neg_lo:[0,0,1] neg_hi:[0,0,1]
	v_pk_fma_f32 v[60:61], v[60:61], v[34:35], v[102:103] op_sel:[0,0,1] op_sel_hi:[0,1,0]
	;; [unrolled: 2-line block ×8, first 2 shown]
	v_pk_mul_f32 v[114:115], v[68:69], v[46:47] op_sel:[1,0]
	v_pk_fma_f32 v[110:111], v[70:71], v[48:49], v[116:117] op_sel:[0,0,1] op_sel_hi:[1,1,0] neg_lo:[0,0,1] neg_hi:[0,0,1]
	v_pk_fma_f32 v[70:71], v[70:71], v[48:49], v[116:117] op_sel:[0,0,1] op_sel_hi:[0,1,0]
	v_mov_b32_e32 v99, v55
	v_mov_b32_e32 v113, v97
	v_pk_fma_f32 v[66:67], v[68:69], v[46:47], v[114:115] op_sel:[0,0,1] op_sel_hi:[1,1,0] neg_lo:[0,0,1] neg_hi:[0,0,1]
	v_pk_fma_f32 v[68:69], v[68:69], v[46:47], v[114:115] op_sel:[0,0,1] op_sel_hi:[0,1,0]
	v_mov_b32_e32 v101, v61
	v_mov_b32_e32 v111, v71
	v_pk_add_f32 v[134:135], v[98:99], v[112:113] neg_lo:[0,1] neg_hi:[0,1]
	v_mov_b32_e32 v103, v63
	v_mov_b32_e32 v67, v69
	v_pk_add_f32 v[62:63], v[98:99], v[112:113]
	v_pk_add_f32 v[136:137], v[100:101], v[110:111] neg_lo:[0,1] neg_hi:[0,1]
	v_pk_mul_f32 v[68:69], v[134:135], s[26:27] op_sel:[1,0] op_sel_hi:[0,0]
	v_mov_b32_e32 v105, v57
	v_mov_b32_e32 v65, v123
	v_pk_add_f32 v[60:61], v[100:101], v[110:111]
	v_pk_add_f32 v[138:139], v[102:103], v[66:67] neg_lo:[0,1] neg_hi:[0,1]
	v_pk_mul_f32 v[70:71], v[136:137], s[36:37] op_sel:[1,0] op_sel_hi:[0,0]
	v_pk_fma_f32 v[126:127], v[62:63], s[0:1], v[68:69] op_sel_hi:[1,0,1]
	v_pk_fma_f32 v[128:129], v[62:63], s[0:1], v[68:69] op_sel_hi:[1,0,1] neg_lo:[0,0,1] neg_hi:[0,0,1]
	v_mov_b32_e32 v107, v59
	v_mov_b32_e32 v109, v121
	v_pk_add_f32 v[58:59], v[102:103], v[66:67]
	v_pk_add_f32 v[140:141], v[104:105], v[64:65] neg_lo:[0,1] neg_hi:[0,1]
	v_pk_mul_f32 v[96:97], v[138:139], s[24:25] op_sel:[1,0] op_sel_hi:[0,0]
	v_pk_fma_f32 v[122:123], v[60:61], s[18:19], v[70:71] op_sel_hi:[1,0,1]
	v_pk_fma_f32 v[124:125], v[60:61], s[18:19], v[70:71] op_sel_hi:[1,0,1] neg_lo:[0,0,1] neg_hi:[0,0,1]
	;; [unrolled: 7-line block ×3, first 2 shown]
	v_mov_b32_e32 v70, v122
	v_mov_b32_e32 v71, v125
	v_pk_add_f32 v[68:69], v[52:53], v[68:69]
	v_pk_add_f32 v[54:55], v[106:107], v[108:109]
	v_pk_mul_f32 v[130:131], v[142:143], s[34:35] op_sel:[1,0] op_sel_hi:[0,0]
	v_pk_fma_f32 v[114:115], v[56:57], s[22:23], v[116:117] op_sel_hi:[1,0,1]
	v_pk_fma_f32 v[116:117], v[56:57], s[22:23], v[116:117] op_sel_hi:[1,0,1] neg_lo:[0,0,1] neg_hi:[0,0,1]
	v_mov_b32_e32 v96, v118
	v_mov_b32_e32 v97, v121
	v_pk_add_f32 v[68:69], v[70:71], v[68:69]
	v_mov_b32_e32 v132, v114
	v_mov_b32_e32 v133, v117
	v_pk_add_f32 v[68:69], v[96:97], v[68:69]
	v_pk_fma_f32 v[144:145], v[54:55], s[30:31], v[130:131] op_sel_hi:[1,0,1]
	v_pk_fma_f32 v[146:147], v[54:55], s[30:31], v[130:131] op_sel_hi:[1,0,1] neg_lo:[0,0,1] neg_hi:[0,0,1]
	v_pk_add_f32 v[68:69], v[132:133], v[68:69]
	v_mov_b32_e32 v70, v144
	v_mov_b32_e32 v71, v147
	v_pk_add_f32 v[68:69], v[70:71], v[68:69]
	v_pk_mul_f32 v[70:71], v[134:135], s[36:37] op_sel:[1,0] op_sel_hi:[0,0]
	v_pk_fma_f32 v[148:149], v[62:63], s[18:19], v[70:71] op_sel_hi:[1,0,1]
	v_pk_fma_f32 v[150:151], v[62:63], s[18:19], v[70:71] op_sel_hi:[1,0,1] neg_lo:[0,0,1] neg_hi:[0,0,1]
	v_pk_mul_f32 v[152:153], v[136:137], s[28:29] op_sel:[1,0] op_sel_hi:[0,0]
	v_mov_b32_e32 v70, v148
	v_mov_b32_e32 v71, v151
	v_pk_mul_f32 v[96:97], v[134:135], s[24:25] op_sel:[1,0] op_sel_hi:[0,0]
	v_pk_fma_f32 v[156:157], v[60:61], s[22:23], v[152:153] op_sel_hi:[1,0,1]
	v_pk_fma_f32 v[158:159], v[60:61], s[22:23], v[152:153] op_sel_hi:[1,0,1] neg_lo:[0,0,1] neg_hi:[0,0,1]
	s_mov_b32 s36, 0x3e903f40
	v_pk_add_f32 v[70:71], v[52:53], v[70:71]
	v_pk_fma_f32 v[130:131], v[62:63], s[20:21], v[96:97] op_sel_hi:[1,0,1]
	v_pk_fma_f32 v[132:133], v[62:63], s[20:21], v[96:97] op_sel_hi:[1,0,1] neg_lo:[0,0,1] neg_hi:[0,0,1]
	v_mov_b32_e32 v152, v156
	v_mov_b32_e32 v153, v159
	v_pk_mul_f32 v[154:155], v[136:137], s[36:37] op_sel:[1,0] op_sel_hi:[0,0]
	v_mov_b32_e32 v96, v130
	v_mov_b32_e32 v97, v133
	v_pk_add_f32 v[70:71], v[152:153], v[70:71]
	v_pk_fma_f32 v[152:153], v[60:61], s[30:31], v[154:155] op_sel_hi:[1,0,1]
	v_pk_fma_f32 v[154:155], v[60:61], s[30:31], v[154:155] op_sel_hi:[1,0,1] neg_lo:[0,0,1] neg_hi:[0,0,1]
	v_pk_add_f32 v[96:97], v[52:53], v[96:97]
	v_mov_b32_e32 v160, v152
	v_mov_b32_e32 v161, v155
	v_pk_add_f32 v[96:97], v[160:161], v[96:97]
	v_pk_mul_f32 v[160:161], v[138:139], s[36:37] op_sel:[1,0] op_sel_hi:[0,0]
	v_pk_fma_f32 v[164:165], v[58:59], s[30:31], v[160:161] op_sel_hi:[1,0,1]
	v_pk_fma_f32 v[166:167], v[58:59], s[30:31], v[160:161] op_sel_hi:[1,0,1] neg_lo:[0,0,1] neg_hi:[0,0,1]
	v_mov_b32_e32 v160, v164
	v_mov_b32_e32 v161, v167
	v_pk_mul_f32 v[162:163], v[138:139], s[38:39] op_sel:[1,0] op_sel_hi:[0,0]
	v_pk_add_f32 v[70:71], v[160:161], v[70:71]
	v_pk_fma_f32 v[160:161], v[58:59], s[18:19], v[162:163] op_sel_hi:[1,0,1]
	v_pk_fma_f32 v[162:163], v[58:59], s[18:19], v[162:163] op_sel_hi:[1,0,1] neg_lo:[0,0,1] neg_hi:[0,0,1]
	v_mov_b32_e32 v168, v160
	v_mov_b32_e32 v169, v163
	v_pk_add_f32 v[96:97], v[168:169], v[96:97]
	v_pk_mul_f32 v[168:169], v[140:141], s[42:43] op_sel:[1,0] op_sel_hi:[0,0]
	v_pk_fma_f32 v[172:173], v[56:57], s[20:21], v[168:169] op_sel_hi:[1,0,1]
	v_pk_fma_f32 v[174:175], v[56:57], s[20:21], v[168:169] op_sel_hi:[1,0,1] neg_lo:[0,0,1] neg_hi:[0,0,1]
	v_mov_b32_e32 v168, v172
	v_mov_b32_e32 v169, v175
	v_pk_mul_f32 v[170:171], v[140:141], s[26:27] op_sel:[1,0] op_sel_hi:[0,0]
	v_pk_add_f32 v[70:71], v[168:169], v[70:71]
	v_pk_fma_f32 v[168:169], v[56:57], s[0:1], v[170:171] op_sel_hi:[1,0,1]
	v_pk_fma_f32 v[170:171], v[56:57], s[0:1], v[170:171] op_sel_hi:[1,0,1] neg_lo:[0,0,1] neg_hi:[0,0,1]
	v_mov_b32_e32 v176, v168
	v_mov_b32_e32 v177, v171
	v_pk_add_f32 v[196:197], v[176:177], v[96:97]
	v_pk_mul_f32 v[96:97], v[142:143], s[40:41] op_sel:[1,0] op_sel_hi:[0,0]
	v_pk_fma_f32 v[180:181], v[54:55], s[0:1], v[96:97] op_sel_hi:[1,0,1]
	v_pk_fma_f32 v[182:183], v[54:55], s[0:1], v[96:97] op_sel_hi:[1,0,1] neg_lo:[0,0,1] neg_hi:[0,0,1]
	v_mov_b32_e32 v96, v180
	v_mov_b32_e32 v97, v183
	v_pk_add_f32 v[96:97], v[96:97], v[70:71]
	v_pk_mul_f32 v[70:71], v[142:143], s[28:29] op_sel:[1,0] op_sel_hi:[0,0]
	v_pk_fma_f32 v[176:177], v[54:55], s[22:23], v[70:71] op_sel_hi:[1,0,1]
	v_pk_fma_f32 v[178:179], v[54:55], s[22:23], v[70:71] op_sel_hi:[1,0,1] neg_lo:[0,0,1] neg_hi:[0,0,1]
	v_mov_b32_e32 v70, v176
	v_mov_b32_e32 v71, v179
	v_pk_add_f32 v[70:71], v[70:71], v[196:197]
	s_and_saveexec_b64 s[36:37], s[6:7]
	s_cbranch_execz .LBB0_15
; %bb.14:
	v_pk_add_f32 v[98:99], v[52:53], v[98:99]
	v_mov_b32_e32 v129, v127
	v_pk_add_f32 v[98:99], v[98:99], v[100:101]
	v_mov_b32_e32 v125, v123
	;; [unrolled: 2-line block ×7, first 2 shown]
	v_pk_add_f32 v[64:65], v[64:65], v[66:67]
	v_pk_add_f32 v[66:67], v[52:53], v[128:129]
	v_pk_add_f32 v[64:65], v[64:65], v[110:111]
	v_pk_add_f32 v[66:67], v[124:125], v[66:67]
	v_pk_add_f32 v[64:65], v[64:65], v[112:113]
	v_pk_add_f32 v[66:67], v[120:121], v[66:67]
	v_mov_b32_e32 v159, v157
	v_pk_add_f32 v[66:67], v[116:117], v[66:67]
	v_mov_b32_e32 v155, v153
	v_pk_add_f32 v[66:67], v[146:147], v[66:67]
	ds_write2_b64 v72, v[64:65], v[66:67] offset1:90
	v_pk_add_f32 v[64:65], v[52:53], v[150:151]
	v_pk_add_f32 v[66:67], v[52:53], v[132:133]
	v_pk_add_f32 v[64:65], v[158:159], v[64:65]
	v_mov_b32_e32 v167, v165
	v_pk_add_f32 v[66:67], v[154:155], v[66:67]
	v_mov_b32_e32 v163, v161
	v_pk_add_f32 v[64:65], v[166:167], v[64:65]
	;; [unrolled: 2-line block ×5, first 2 shown]
	v_mov_b32_e32 v179, v177
	v_mov_b32_e32 v196, v135
	;; [unrolled: 1-line block ×3, first 2 shown]
	v_pk_add_f32 v[64:65], v[182:183], v[64:65]
	v_pk_add_f32 v[66:67], v[178:179], v[66:67]
	v_add_u32_e32 v98, 0x400, v72
	v_mov_b32_e32 v134, v137
	v_mov_b32_e32 v135, v136
	ds_write2_b64 v98, v[64:65], v[66:67] offset0:52 offset1:142
	v_pk_mul_f32 v[64:65], v[196:197], s[28:29] op_sel_hi:[1,0]
	v_pk_mul_f32 v[100:101], v[134:135], s[42:43] op_sel_hi:[1,0]
	v_pk_fma_f32 v[66:67], v[62:63], s[22:23], v[64:65] op_sel_hi:[1,0,1] neg_lo:[0,0,1] neg_hi:[0,0,1]
	v_pk_fma_f32 v[64:65], v[62:63], s[22:23], v[64:65] op_sel_hi:[1,0,1]
	v_mov_b32_e32 v98, v66
	v_mov_b32_e32 v99, v65
	v_pk_fma_f32 v[102:103], v[60:61], s[20:21], v[100:101] op_sel_hi:[1,0,1] neg_lo:[0,0,1] neg_hi:[0,0,1]
	v_pk_fma_f32 v[100:101], v[60:61], s[20:21], v[100:101] op_sel_hi:[1,0,1]
	v_mov_b32_e32 v136, v139
	v_mov_b32_e32 v137, v138
	v_pk_add_f32 v[98:99], v[52:53], v[98:99]
	v_mov_b32_e32 v104, v102
	v_mov_b32_e32 v105, v101
	v_pk_add_f32 v[98:99], v[104:105], v[98:99]
	v_pk_mul_f32 v[104:105], v[136:137], s[26:27] op_sel_hi:[1,0]
	v_mov_b32_e32 v138, v141
	v_pk_fma_f32 v[106:107], v[58:59], s[0:1], v[104:105] op_sel_hi:[1,0,1] neg_lo:[0,0,1] neg_hi:[0,0,1]
	v_pk_fma_f32 v[104:105], v[58:59], s[0:1], v[104:105] op_sel_hi:[1,0,1]
	v_mov_b32_e32 v139, v140
	v_mov_b32_e32 v108, v106
	v_mov_b32_e32 v109, v105
	v_pk_add_f32 v[98:99], v[108:109], v[98:99]
	v_pk_mul_f32 v[108:109], v[138:139], s[34:35] op_sel_hi:[1,0]
	v_mov_b32_e32 v140, v143
	v_pk_fma_f32 v[110:111], v[56:57], s[30:31], v[108:109] op_sel_hi:[1,0,1] neg_lo:[0,0,1] neg_hi:[0,0,1]
	v_pk_fma_f32 v[108:109], v[56:57], s[30:31], v[108:109] op_sel_hi:[1,0,1]
	v_mov_b32_e32 v141, v142
	v_mov_b32_e32 v112, v110
	;; [unrolled: 1-line block ×3, first 2 shown]
	v_pk_add_f32 v[98:99], v[112:113], v[98:99]
	v_pk_mul_f32 v[112:113], v[140:141], s[38:39] op_sel_hi:[1,0]
	v_pk_mul_f32 v[118:119], v[134:135], s[40:41] op_sel_hi:[1,0]
	v_pk_fma_f32 v[114:115], v[54:55], s[18:19], v[112:113] op_sel_hi:[1,0,1] neg_lo:[0,0,1] neg_hi:[0,0,1]
	v_pk_fma_f32 v[112:113], v[54:55], s[18:19], v[112:113] op_sel_hi:[1,0,1]
	v_mov_b32_e32 v116, v114
	v_mov_b32_e32 v117, v113
	v_pk_add_f32 v[98:99], v[116:117], v[98:99]
	v_pk_mul_f32 v[116:117], v[196:197], s[34:35] op_sel_hi:[1,0]
	v_pk_fma_f32 v[128:129], v[60:61], s[0:1], v[118:119] op_sel_hi:[1,0,1] neg_lo:[0,0,1] neg_hi:[0,0,1]
	v_pk_fma_f32 v[126:127], v[62:63], s[30:31], v[116:117] op_sel_hi:[1,0,1] neg_lo:[0,0,1] neg_hi:[0,0,1]
	v_pk_fma_f32 v[62:63], v[62:63], s[30:31], v[116:117] op_sel_hi:[1,0,1]
	v_mov_b32_e32 v116, v126
	v_mov_b32_e32 v117, v63
	v_pk_fma_f32 v[60:61], v[60:61], s[0:1], v[118:119] op_sel_hi:[1,0,1]
	v_pk_mul_f32 v[120:121], v[136:137], s[28:29] op_sel_hi:[1,0]
	v_pk_add_f32 v[116:117], v[52:53], v[116:117]
	v_mov_b32_e32 v118, v128
	v_mov_b32_e32 v119, v61
	v_pk_add_f32 v[116:117], v[118:119], v[116:117]
	v_pk_fma_f32 v[118:119], v[58:59], s[22:23], v[120:121] op_sel_hi:[1,0,1] neg_lo:[0,0,1] neg_hi:[0,0,1]
	v_pk_fma_f32 v[58:59], v[58:59], s[22:23], v[120:121] op_sel_hi:[1,0,1]
	v_pk_mul_f32 v[122:123], v[138:139], s[38:39] op_sel_hi:[1,0]
	v_mov_b32_e32 v120, v118
	v_mov_b32_e32 v121, v59
	v_pk_add_f32 v[116:117], v[120:121], v[116:117]
	v_pk_fma_f32 v[120:121], v[56:57], s[18:19], v[122:123] op_sel_hi:[1,0,1] neg_lo:[0,0,1] neg_hi:[0,0,1]
	v_pk_fma_f32 v[56:57], v[56:57], s[18:19], v[122:123] op_sel_hi:[1,0,1]
	v_pk_mul_f32 v[124:125], v[140:141], s[24:25] op_sel_hi:[1,0]
	v_mov_b32_e32 v122, v120
	v_mov_b32_e32 v123, v57
	;; [unrolled: 1-line block ×4, first 2 shown]
	v_pk_add_f32 v[116:117], v[122:123], v[116:117]
	v_pk_fma_f32 v[122:123], v[54:55], s[20:21], v[124:125] op_sel_hi:[1,0,1] neg_lo:[0,0,1] neg_hi:[0,0,1]
	v_pk_fma_f32 v[54:55], v[54:55], s[20:21], v[124:125] op_sel_hi:[1,0,1]
	v_pk_add_f32 v[62:63], v[52:53], v[62:63]
	v_mov_b32_e32 v61, v129
	v_pk_add_f32 v[52:53], v[52:53], v[64:65]
	v_mov_b32_e32 v101, v103
	v_mov_b32_e32 v124, v122
	;; [unrolled: 1-line block ×3, first 2 shown]
	v_pk_add_f32 v[60:61], v[60:61], v[62:63]
	v_mov_b32_e32 v59, v119
	v_pk_add_f32 v[52:53], v[100:101], v[52:53]
	v_mov_b32_e32 v105, v107
	v_pk_add_f32 v[116:117], v[124:125], v[116:117]
	v_add_u32_e32 v55, 0x800, v72
	v_pk_add_f32 v[58:59], v[58:59], v[60:61]
	v_mov_b32_e32 v57, v121
	v_pk_add_f32 v[52:53], v[104:105], v[52:53]
	v_mov_b32_e32 v109, v111
	ds_write2_b64 v55, v[98:99], v[116:117] offset0:104 offset1:194
	v_pk_add_f32 v[56:57], v[56:57], v[58:59]
	v_mov_b32_e32 v55, v123
	v_pk_add_f32 v[52:53], v[108:109], v[52:53]
	v_mov_b32_e32 v113, v115
	v_pk_add_f32 v[54:55], v[54:55], v[56:57]
	v_pk_add_f32 v[52:53], v[112:113], v[52:53]
	v_add_u32_e32 v56, 0x1000, v72
	ds_write2_b64 v56, v[54:55], v[52:53] offset0:28 offset1:118
	v_add_u32_e32 v52, 0x1400, v72
	ds_write2_b64 v52, v[70:71], v[96:97] offset0:80 offset1:170
	ds_write_b64 v72, v[68:69] offset:7200
.LBB0_15:
	s_or_b64 exec, exec, s[36:37]
	v_lshlrev_b32_e32 v52, 3, v76
	v_mov_b32_e32 v53, 0
	v_lshl_add_u64 v[54:55], s[16:17], 0, v[52:53]
	s_mov_b64 s[0:1], 0x1ef0
	v_add_co_u32_e32 v56, vcc, 0x1000, v54
	v_lshl_add_u64 v[52:53], v[54:55], 0, s[0:1]
	s_nop 0
	v_addc_co_u32_e32 v57, vcc, 0, v55, vcc
	s_waitcnt lgkmcnt(0)
	s_barrier
	global_load_dwordx2 v[64:65], v[52:53], off offset:880
	global_load_dwordx2 v[60:61], v[56:57], off offset:3824
	global_load_dwordx2 v[100:101], v[52:53], off offset:3960
	s_movk_i32 s0, 0x3000
	v_add_co_u32_e32 v54, vcc, s0, v54
	v_add_u32_e32 v98, 0x1400, v72
	s_nop 0
	v_addc_co_u32_e32 v55, vcc, 0, v55, vcc
	global_load_dwordx2 v[102:103], v[54:55], off offset:472
	global_load_dwordx2 v[104:105], v[52:53], off offset:1760
	;; [unrolled: 1-line block ×5, first 2 shown]
	ds_read2_b64 v[56:59], v72 offset1:110
	v_add_u32_e32 v55, 0xc00, v72
	v_add_u32_e32 v54, 0x400, v72
	;; [unrolled: 1-line block ×4, first 2 shown]
	s_waitcnt vmcnt(6) lgkmcnt(0)
	v_mul_f32_e32 v62, v57, v61
	v_mul_f32_e32 v63, v56, v61
	v_fma_f32 v62, v56, v60, -v62
	v_fmac_f32_e32 v63, v57, v60
	ds_write_b64 v72, v[62:63]
	v_mul_f32_e32 v66, v59, v65
	v_mul_f32_e32 v113, v58, v65
	ds_read2_b64 v[60:63], v55 offset0:111 offset1:221
	v_fma_f32 v112, v58, v64, -v66
	v_fmac_f32_e32 v113, v59, v64
	ds_read2_b64 v[56:59], v54 offset0:92 offset1:202
	ds_read2_b64 v[64:67], v98 offset0:75 offset1:185
	s_waitcnt vmcnt(5) lgkmcnt(2)
	v_mul_f32_e32 v114, v61, v101
	v_mul_f32_e32 v115, v60, v101
	s_waitcnt vmcnt(4)
	v_mul_f32_e32 v117, v63, v103
	v_mul_f32_e32 v101, v62, v103
	s_waitcnt vmcnt(3) lgkmcnt(1)
	v_mul_f32_e32 v118, v57, v105
	v_mul_f32_e32 v103, v56, v105
	s_waitcnt vmcnt(2) lgkmcnt(0)
	v_mul_f32_e32 v119, v65, v107
	v_mul_f32_e32 v105, v64, v107
	s_waitcnt vmcnt(1)
	v_mul_f32_e32 v120, v59, v109
	v_mul_f32_e32 v107, v58, v109
	s_waitcnt vmcnt(0)
	v_mul_f32_e32 v121, v67, v111
	v_mul_f32_e32 v109, v66, v111
	v_fma_f32 v114, v60, v100, -v114
	v_fmac_f32_e32 v115, v61, v100
	v_fma_f32 v100, v62, v102, -v117
	v_fmac_f32_e32 v101, v63, v102
	;; [unrolled: 2-line block ×6, first 2 shown]
	ds_write2_b64 v72, v[112:113], v[102:103] offset0:110 offset1:220
	ds_write2_b64 v99, v[100:101], v[104:105] offset0:93 offset1:203
	;; [unrolled: 1-line block ×3, first 2 shown]
	ds_write_b64 v72, v[108:109] offset:6600
	s_and_saveexec_b64 s[0:1], s[8:9]
	s_cbranch_execz .LBB0_17
; %bb.16:
	global_load_dwordx2 v[56:57], v[52:53], off offset:3520
	v_add_co_u32_e32 v52, vcc, 0x1000, v52
	s_nop 1
	v_addc_co_u32_e32 v53, vcc, 0, v53, vcc
	global_load_dwordx2 v[52:53], v[52:53], off offset:3384
	ds_read_b64 v[58:59], v72 offset:3520
	ds_read_b64 v[60:61], v72 offset:7480
	s_waitcnt vmcnt(1) lgkmcnt(1)
	v_mul_f32_e32 v62, v59, v57
	v_mul_f32_e32 v63, v58, v57
	v_fma_f32 v62, v58, v56, -v62
	v_fmac_f32_e32 v63, v59, v56
	ds_write_b64 v72, v[62:63] offset:3520
	s_waitcnt vmcnt(0) lgkmcnt(1)
	v_mul_f32_e32 v56, v61, v53
	v_mul_f32_e32 v57, v60, v53
	v_fma_f32 v56, v60, v52, -v56
	v_fmac_f32_e32 v57, v61, v52
	ds_write_b64 v72, v[56:57] offset:7480
.LBB0_17:
	s_or_b64 exec, exec, s[0:1]
	s_waitcnt lgkmcnt(0)
	s_barrier
	ds_read2_b64 v[60:63], v72 offset1:110
	ds_read2_b64 v[64:67], v55 offset0:111 offset1:221
	ds_read2_b64 v[56:59], v54 offset0:92 offset1:202
	;; [unrolled: 1-line block ×3, first 2 shown]
	v_add_u32_e32 v114, 0x14a0, v188
	s_and_saveexec_b64 s[0:1], s[8:9]
	s_cbranch_execz .LBB0_19
; %bb.18:
	ds_read_b64 v[70:71], v72 offset:3520
	ds_read_b64 v[96:97], v72 offset:7480
.LBB0_19:
	s_or_b64 exec, exec, s[0:1]
	s_waitcnt lgkmcnt(2)
	v_pk_add_f32 v[118:119], v[60:61], v[64:65] neg_lo:[0,1] neg_hi:[0,1]
	v_pk_add_f32 v[64:65], v[62:63], v[66:67] neg_lo:[0,1] neg_hi:[0,1]
	s_waitcnt lgkmcnt(0)
	v_pk_add_f32 v[66:67], v[56:57], v[52:53] neg_lo:[0,1] neg_hi:[0,1]
	v_pk_add_f32 v[120:121], v[58:59], v[54:55] neg_lo:[0,1] neg_hi:[0,1]
	v_pk_fma_f32 v[116:117], v[60:61], 2.0, v[118:119] op_sel_hi:[1,0,1] neg_lo:[0,0,1] neg_hi:[0,0,1]
	v_pk_fma_f32 v[62:63], v[62:63], 2.0, v[64:65] op_sel_hi:[1,0,1] neg_lo:[0,0,1] neg_hi:[0,0,1]
	v_mov_b32_e32 v112, v0
	v_mov_b32_e32 v113, v0
	v_mov_b32_e32 v0, v1
	v_mov_b32_e32 v110, v2
	v_mov_b32_e32 v111, v2
	v_mov_b32_e32 v2, v3
	v_mov_b32_e32 v108, v12
	v_mov_b32_e32 v109, v12
	v_mov_b32_e32 v12, v13
	v_mov_b32_e32 v106, v14
	v_mov_b32_e32 v107, v14
	v_mov_b32_e32 v14, v15
	v_mov_b32_e32 v104, v8
	v_mov_b32_e32 v105, v8
	v_mov_b32_e32 v8, v9
	v_mov_b32_e32 v102, v10
	v_mov_b32_e32 v103, v10
	v_mov_b32_e32 v10, v11
	v_mov_b32_e32 v100, v4
	v_mov_b32_e32 v101, v4
	v_mov_b32_e32 v4, v5
	v_mov_b32_e32 v98, v6
	v_mov_b32_e32 v99, v6
	v_mov_b32_e32 v6, v7
	v_pk_add_f32 v[54:55], v[70:71], v[96:97] neg_lo:[0,1] neg_hi:[0,1]
	s_barrier
	ds_write_b128 v77, v[116:119]
	ds_write_b128 v85, v[62:65]
	v_pk_fma_f32 v[64:65], v[56:57], 2.0, v[66:67] op_sel_hi:[1,0,1] neg_lo:[0,0,1] neg_hi:[0,0,1]
	v_pk_fma_f32 v[118:119], v[58:59], 2.0, v[120:121] op_sel_hi:[1,0,1] neg_lo:[0,0,1] neg_hi:[0,0,1]
	ds_write_b128 v184, v[64:67]
	ds_write_b128 v114, v[118:121]
	s_and_saveexec_b64 s[0:1], s[8:9]
	s_cbranch_execz .LBB0_21
; %bb.20:
	v_pk_fma_f32 v[52:53], v[70:71], 2.0, v[54:55] op_sel_hi:[1,0,1] neg_lo:[0,0,1] neg_hi:[0,0,1]
	ds_write_b128 v73, v[52:55]
.LBB0_21:
	s_or_b64 exec, exec, s[0:1]
	v_add_u32_e32 v73, 0xc00, v72
	s_waitcnt lgkmcnt(0)
	s_barrier
	ds_read2_b64 v[56:59], v73 offset0:56 offset1:166
	v_add_u32_e32 v77, 0x400, v72
	ds_read2_b64 v[60:63], v77 offset0:92 offset1:202
	ds_read_b64 v[52:53], v72 offset:7040
	v_add_u32_e32 v85, 0x1400, v72
	ds_read2_b64 v[114:117], v85 offset0:20 offset1:130
	s_waitcnt lgkmcnt(3)
	v_pk_mul_f32 v[64:65], v[0:1], v[58:59]
	s_mov_b32 s0, 0x3f5db3d7
	v_pk_fma_f32 v[70:71], v[112:113], v[58:59], v[64:65] op_sel:[0,0,1] op_sel_hi:[1,1,0]
	v_pk_fma_f32 v[58:59], v[112:113], v[58:59], v[64:65] op_sel:[0,0,1] op_sel_hi:[1,1,0] neg_lo:[0,0,1] neg_hi:[0,0,1]
	ds_read2_b64 v[64:67], v72 offset1:110
	v_mov_b32_e32 v71, v59
	s_waitcnt lgkmcnt(2)
	v_pk_mul_f32 v[58:59], v[2:3], v[52:53]
	s_waitcnt lgkmcnt(0)
	v_pk_fma_f32 v[96:97], v[110:111], v[52:53], v[58:59] op_sel:[0,0,1] op_sel_hi:[1,1,0]
	v_pk_fma_f32 v[52:53], v[110:111], v[52:53], v[58:59] op_sel:[0,0,1] op_sel_hi:[1,1,0] neg_lo:[0,0,1] neg_hi:[0,0,1]
	v_pk_mul_f32 v[58:59], v[0:1], v[56:57]
	v_pk_mul_f32 v[0:1], v[0:1], v[62:63]
	v_pk_fma_f32 v[118:119], v[112:113], v[56:57], v[58:59] op_sel:[0,0,1] op_sel_hi:[1,1,0]
	v_pk_fma_f32 v[56:57], v[112:113], v[56:57], v[58:59] op_sel:[0,0,1] op_sel_hi:[1,1,0] neg_lo:[0,0,1] neg_hi:[0,0,1]
	s_barrier
	v_mov_b32_e32 v119, v57
	v_pk_mul_f32 v[56:57], v[2:3], v[116:117]
	s_nop 0
	v_pk_fma_f32 v[58:59], v[110:111], v[116:117], v[56:57] op_sel:[0,0,1] op_sel_hi:[1,1,0]
	v_pk_fma_f32 v[56:57], v[110:111], v[116:117], v[56:57] op_sel:[0,0,1] op_sel_hi:[1,1,0] neg_lo:[0,0,1] neg_hi:[0,0,1]
	v_pk_fma_f32 v[116:117], v[112:113], v[62:63], v[0:1] op_sel:[0,0,1] op_sel_hi:[1,1,0]
	v_pk_fma_f32 v[0:1], v[112:113], v[62:63], v[0:1] op_sel:[0,0,1] op_sel_hi:[1,1,0] neg_lo:[0,0,1] neg_hi:[0,0,1]
	v_mov_b32_e32 v59, v57
	v_mov_b32_e32 v117, v1
	v_pk_mul_f32 v[0:1], v[2:3], v[114:115]
	v_pk_add_f32 v[56:57], v[66:67], v[118:119]
	v_pk_fma_f32 v[2:3], v[110:111], v[114:115], v[0:1] op_sel:[0,0,1] op_sel_hi:[1,1,0]
	v_pk_fma_f32 v[0:1], v[110:111], v[114:115], v[0:1] op_sel:[0,0,1] op_sel_hi:[1,1,0] neg_lo:[0,0,1] neg_hi:[0,0,1]
	v_pk_add_f32 v[56:57], v[56:57], v[58:59]
	v_mov_b32_e32 v3, v1
	v_pk_add_f32 v[0:1], v[64:65], v[116:117]
	v_pk_add_f32 v[62:63], v[116:117], v[2:3]
	v_pk_add_f32 v[0:1], v[0:1], v[2:3]
	v_pk_add_f32 v[2:3], v[116:117], v[2:3] neg_lo:[0,1] neg_hi:[0,1]
	v_pk_fma_f32 v[62:63], v[62:63], 0.5, v[64:65] op_sel_hi:[1,0,1] neg_lo:[1,0,0] neg_hi:[1,0,0]
	v_pk_mul_f32 v[2:3], v[2:3], s[0:1] op_sel_hi:[1,0]
	v_mov_b32_e32 v97, v53
	v_pk_add_f32 v[64:65], v[62:63], v[2:3] op_sel:[0,1] op_sel_hi:[1,0] neg_lo:[0,1] neg_hi:[0,1]
	v_pk_add_f32 v[2:3], v[62:63], v[2:3] op_sel:[0,1] op_sel_hi:[1,0]
	v_mov_b32_e32 v62, v64
	v_mov_b32_e32 v63, v3
	;; [unrolled: 1-line block ×3, first 2 shown]
	ds_write2_b64 v187, v[0:1], v[62:63] offset1:2
	ds_write_b64 v187, v[2:3] offset:32
	v_pk_add_f32 v[0:1], v[118:119], v[58:59]
	v_pk_add_f32 v[2:3], v[118:119], v[58:59] neg_lo:[0,1] neg_hi:[0,1]
	v_pk_fma_f32 v[0:1], v[0:1], 0.5, v[66:67] op_sel_hi:[1,0,1] neg_lo:[1,0,0] neg_hi:[1,0,0]
	v_pk_mul_f32 v[2:3], v[2:3], s[0:1] op_sel_hi:[1,0]
	v_pk_add_f32 v[52:53], v[60:61], v[70:71]
	v_pk_add_f32 v[58:59], v[0:1], v[2:3] op_sel:[0,1] op_sel_hi:[1,0] neg_lo:[0,1] neg_hi:[0,1]
	v_pk_add_f32 v[0:1], v[0:1], v[2:3] op_sel:[0,1] op_sel_hi:[1,0]
	v_mov_b32_e32 v2, v58
	v_mov_b32_e32 v3, v1
	;; [unrolled: 1-line block ×3, first 2 shown]
	ds_write2_b64 v186, v[56:57], v[2:3] offset1:2
	ds_write_b64 v186, v[0:1] offset:32
	v_pk_add_f32 v[0:1], v[70:71], v[96:97]
	v_pk_add_f32 v[2:3], v[70:71], v[96:97] neg_lo:[0,1] neg_hi:[0,1]
	v_pk_fma_f32 v[0:1], v[0:1], 0.5, v[60:61] op_sel_hi:[1,0,1] neg_lo:[1,0,0] neg_hi:[1,0,0]
	v_pk_mul_f32 v[2:3], v[2:3], s[0:1] op_sel_hi:[1,0]
	v_pk_add_f32 v[52:53], v[52:53], v[96:97]
	v_pk_add_f32 v[56:57], v[0:1], v[2:3] op_sel:[0,1] op_sel_hi:[1,0] neg_lo:[0,1] neg_hi:[0,1]
	v_pk_add_f32 v[0:1], v[0:1], v[2:3] op_sel:[0,1] op_sel_hi:[1,0]
	v_mov_b32_e32 v2, v56
	v_mov_b32_e32 v3, v1
	;; [unrolled: 1-line block ×3, first 2 shown]
	ds_write2_b64 v185, v[52:53], v[2:3] offset1:2
	ds_write_b64 v185, v[0:1] offset:32
	s_waitcnt lgkmcnt(0)
	s_barrier
	ds_read2_b64 v[0:3], v73 offset0:56 offset1:166
	ds_read2_b64 v[56:59], v85 offset0:20 offset1:130
	ds_read2_b64 v[60:63], v72 offset1:110
	s_waitcnt lgkmcnt(2)
	v_pk_mul_f32 v[12:13], v[12:13], v[0:1]
	s_nop 0
	v_pk_fma_f32 v[70:71], v[108:109], v[0:1], v[12:13] op_sel:[0,0,1] op_sel_hi:[1,1,0]
	v_pk_fma_f32 v[0:1], v[108:109], v[0:1], v[12:13] op_sel:[0,0,1] op_sel_hi:[1,1,0] neg_lo:[0,0,1] neg_hi:[0,0,1]
	v_pk_mul_f32 v[52:53], v[104:105], v[2:3]
	v_mov_b32_e32 v71, v1
	s_waitcnt lgkmcnt(1)
	v_pk_mul_f32 v[0:1], v[14:15], v[58:59]
	ds_read2_b64 v[64:67], v77 offset0:92 offset1:202
	ds_read_b64 v[14:15], v72 offset:7040
	v_pk_fma_f32 v[104:105], v[8:9], v[2:3], v[52:53] op_sel:[0,0,1] op_sel_hi:[1,1,0]
	v_pk_fma_f32 v[2:3], v[8:9], v[2:3], v[52:53] op_sel:[0,0,1] op_sel_hi:[1,1,0] neg_lo:[1,0,0] neg_hi:[1,0,0]
	v_pk_fma_f32 v[96:97], v[106:107], v[58:59], v[0:1] op_sel:[0,0,1] op_sel_hi:[1,1,0]
	v_mov_b32_e32 v3, v105
	s_waitcnt lgkmcnt(0)
	v_pk_mul_f32 v[8:9], v[102:103], v[14:15]
	v_pk_fma_f32 v[0:1], v[106:107], v[58:59], v[0:1] op_sel:[0,0,1] op_sel_hi:[1,1,0] neg_lo:[0,0,1] neg_hi:[0,0,1]
	v_pk_fma_f32 v[52:53], v[10:11], v[14:15], v[8:9] op_sel:[0,0,1] op_sel_hi:[1,1,0]
	v_pk_fma_f32 v[8:9], v[10:11], v[14:15], v[8:9] op_sel:[0,0,1] op_sel_hi:[1,1,0] neg_lo:[1,0,0] neg_hi:[1,0,0]
	v_mov_b32_e32 v10, v105
	v_mov_b32_e32 v11, v2
	;; [unrolled: 1-line block ×5, first 2 shown]
	v_pk_add_f32 v[52:53], v[10:11], v[14:15]
	v_pk_add_f32 v[2:3], v[2:3], v[8:9] neg_lo:[0,1] neg_hi:[0,1]
	v_pk_fma_f32 v[102:103], v[52:53], 0.5, v[64:65] op_sel_hi:[1,0,1] neg_lo:[1,0,0] neg_hi:[1,0,0]
	v_pk_add_f32 v[8:9], v[64:65], v[10:11]
	v_pk_fma_f32 v[52:53], v[2:3], s[0:1], v[102:103] op_sel_hi:[1,0,1]
	v_pk_add_f32 v[14:15], v[8:9], v[14:15]
	v_pk_fma_f32 v[8:9], v[2:3], s[0:1], v[102:103] op_sel_hi:[1,0,1] neg_lo:[1,0,0] neg_hi:[1,0,0]
	v_pk_mul_f32 v[2:3], v[4:5], v[66:67]
	v_mov_b32_e32 v97, v1
	v_pk_fma_f32 v[4:5], v[100:101], v[66:67], v[2:3] op_sel:[0,0,1] op_sel_hi:[1,1,0]
	v_pk_fma_f32 v[2:3], v[100:101], v[66:67], v[2:3] op_sel:[0,0,1] op_sel_hi:[1,1,0] neg_lo:[0,0,1] neg_hi:[0,0,1]
	v_pk_add_f32 v[0:1], v[70:71], v[96:97]
	v_mov_b32_e32 v5, v3
	v_pk_mul_f32 v[2:3], v[6:7], v[56:57]
	v_pk_add_f32 v[12:13], v[70:71], v[96:97] neg_lo:[0,1] neg_hi:[0,1]
	v_pk_fma_f32 v[6:7], v[98:99], v[56:57], v[2:3] op_sel:[0,0,1] op_sel_hi:[1,1,0]
	v_pk_fma_f32 v[2:3], v[98:99], v[56:57], v[2:3] op_sel:[0,0,1] op_sel_hi:[1,1,0] neg_lo:[0,0,1] neg_hi:[0,0,1]
	v_pk_fma_f32 v[0:1], v[0:1], 0.5, v[62:63] op_sel_hi:[1,0,1] neg_lo:[1,0,0] neg_hi:[1,0,0]
	v_mov_b32_e32 v7, v3
	v_pk_add_f32 v[2:3], v[60:61], v[4:5]
	v_pk_add_f32 v[10:11], v[4:5], v[6:7]
	v_pk_add_f32 v[4:5], v[4:5], v[6:7] neg_lo:[0,1] neg_hi:[0,1]
	v_pk_fma_f32 v[10:11], v[10:11], 0.5, v[60:61] op_sel_hi:[1,0,1] neg_lo:[1,0,0] neg_hi:[1,0,0]
	v_pk_mul_f32 v[4:5], v[4:5], s[0:1] op_sel_hi:[1,0]
	v_pk_add_f32 v[2:3], v[2:3], v[6:7]
	v_pk_add_f32 v[6:7], v[10:11], v[4:5] op_sel:[0,1] op_sel_hi:[1,0] neg_lo:[0,1] neg_hi:[0,1]
	v_pk_add_f32 v[4:5], v[10:11], v[4:5] op_sel:[0,1] op_sel_hi:[1,0]
	v_pk_mul_f32 v[12:13], v[12:13], s[0:1] op_sel_hi:[1,0]
	v_mov_b32_e32 v10, v6
	v_mov_b32_e32 v11, v5
	v_pk_add_f32 v[58:59], v[0:1], v[12:13] op_sel:[0,1] op_sel_hi:[1,0]
	v_pk_add_f32 v[0:1], v[0:1], v[12:13] op_sel:[0,1] op_sel_hi:[1,0] neg_lo:[0,1] neg_hi:[0,1]
	s_barrier
	ds_write2_b64 v191, v[2:3], v[10:11] offset1:6
	v_pk_add_f32 v[2:3], v[62:63], v[70:71]
	v_mov_b32_e32 v13, v1
	v_mov_b32_e32 v5, v7
	v_pk_add_f32 v[2:3], v[2:3], v[96:97]
	v_mov_b32_e32 v1, v59
	v_mov_b32_e32 v12, v58
	ds_write_b64 v191, v[4:5] offset:96
	ds_write2_b64 v192, v[2:3], v[0:1] offset1:6
	ds_write_b64 v192, v[12:13] offset:96
	v_mov_b32_e32 v0, v8
	v_mov_b32_e32 v1, v53
	ds_write2_b64 v193, v[14:15], v[0:1] offset1:6
	v_mov_b32_e32 v0, v52
	v_mov_b32_e32 v1, v9
	ds_write_b64 v193, v[0:1] offset:96
	s_waitcnt lgkmcnt(0)
	s_barrier
	ds_read2_b64 v[56:59], v72 offset1:198
	ds_read2_b64 v[0:3], v73 offset0:12 offset1:210
	ds_read_b64 v[4:5], v72 offset:6336
	s_and_saveexec_b64 s[0:1], s[4:5]
	s_xor_b64 s[0:1], exec, s[0:1]
	s_or_saveexec_b64 s[0:1], s[0:1]
	v_mov_b32_e32 v62, v26
	v_mov_b32_e32 v63, v26
	;; [unrolled: 1-line block ×12, first 2 shown]
	s_xor_b64 exec, exec, s[0:1]
	s_cbranch_execz .LBB0_23
; %bb.22:
	v_add_u32_e32 v8, 0xf00, v72
	ds_read2_b64 v[8:11], v8 offset0:26 offset1:224
	v_add_u32_e32 v12, 0x200, v72
	ds_read_b64 v[54:55], v72 offset:7216
	ds_read2_b64 v[12:15], v12 offset0:46 offset1:244
	s_waitcnt lgkmcnt(2)
	v_mov_b32_e32 v52, v10
	v_mov_b32_e32 v53, v9
	;; [unrolled: 1-line block ×3, first 2 shown]
.LBB0_23:
	s_or_b64 exec, exec, s[0:1]
	s_waitcnt lgkmcnt(2)
	v_pk_mul_f32 v[10:11], v[24:25], v[58:59]
	s_waitcnt lgkmcnt(1)
	v_pk_mul_f32 v[24:25], v[26:27], v[0:1]
	v_pk_fma_f32 v[98:99], v[64:65], v[58:59], v[10:11] op_sel:[0,0,1] op_sel_hi:[1,1,0]
	v_pk_fma_f32 v[10:11], v[64:65], v[58:59], v[10:11] op_sel:[0,0,1] op_sel_hi:[1,1,0] neg_lo:[0,0,1] neg_hi:[0,0,1]
	v_pk_mul_f32 v[26:27], v[28:29], v[2:3]
	v_mov_b32_e32 v99, v11
	v_pk_fma_f32 v[10:11], v[62:63], v[0:1], v[24:25] op_sel:[0,0,1] op_sel_hi:[1,1,0]
	v_pk_fma_f32 v[0:1], v[62:63], v[0:1], v[24:25] op_sel:[0,0,1] op_sel_hi:[1,1,0] neg_lo:[0,0,1] neg_hi:[0,0,1]
	s_waitcnt lgkmcnt(0)
	v_pk_mul_f32 v[28:29], v[30:31], v[4:5]
	v_mov_b32_e32 v11, v1
	v_pk_fma_f32 v[24:25], v[60:61], v[2:3], v[26:27] op_sel:[0,0,1] op_sel_hi:[1,1,0]
	v_pk_fma_f32 v[0:1], v[60:61], v[2:3], v[26:27] op_sel:[0,0,1] op_sel_hi:[1,1,0] neg_lo:[0,0,1] neg_hi:[0,0,1]
	v_pk_fma_f32 v[26:27], v[6:7], v[4:5], v[28:29] op_sel:[0,0,1] op_sel_hi:[1,1,0]
	v_mov_b32_e32 v25, v1
	v_pk_fma_f32 v[0:1], v[6:7], v[4:5], v[28:29] op_sel:[0,0,1] op_sel_hi:[1,1,0] neg_lo:[0,0,1] neg_hi:[0,0,1]
	s_mov_b32 s0, 0x3f737871
	v_mov_b32_e32 v27, v1
	v_pk_add_f32 v[0:1], v[10:11], v[24:25]
	v_pk_add_f32 v[6:7], v[98:99], v[26:27] neg_lo:[0,1] neg_hi:[0,1]
	v_pk_fma_f32 v[2:3], v[0:1], 0.5, v[56:57] op_sel_hi:[1,0,1] neg_lo:[1,0,0] neg_hi:[1,0,0]
	v_pk_add_f32 v[28:29], v[10:11], v[24:25] neg_lo:[0,1] neg_hi:[0,1]
	s_mov_b32 s4, 0x3f167918
	v_pk_add_f32 v[0:1], v[98:99], v[10:11] neg_lo:[0,1] neg_hi:[0,1]
	v_pk_add_f32 v[4:5], v[26:27], v[24:25] neg_lo:[0,1] neg_hi:[0,1]
	v_pk_fma_f32 v[58:59], v[6:7], s[0:1], v[2:3] op_sel:[1,0,0] op_sel_hi:[0,0,1] neg_lo:[1,0,0] neg_hi:[1,0,0]
	v_pk_fma_f32 v[2:3], v[6:7], s[0:1], v[2:3] op_sel:[1,0,0] op_sel_hi:[0,0,1]
	v_pk_add_f32 v[4:5], v[0:1], v[4:5]
	v_pk_add_f32 v[0:1], v[56:57], v[98:99]
	v_pk_fma_f32 v[60:61], v[28:29], s[4:5], v[2:3] op_sel:[1,0,0] op_sel_hi:[0,0,1]
	v_pk_fma_f32 v[58:59], v[28:29], s[4:5], v[58:59] op_sel:[1,0,0] op_sel_hi:[0,0,1] neg_lo:[1,0,0] neg_hi:[1,0,0]
	v_pk_add_f32 v[0:1], v[0:1], v[10:11]
	v_mov_b32_e32 v2, v58
	v_mov_b32_e32 v3, v61
	;; [unrolled: 1-line block ×3, first 2 shown]
	v_pk_add_f32 v[58:59], v[98:99], v[26:27]
	v_pk_add_f32 v[0:1], v[0:1], v[24:25]
	v_pk_fma_f32 v[56:57], v[58:59], 0.5, v[56:57] op_sel_hi:[1,0,1] neg_lo:[1,0,0] neg_hi:[1,0,0]
	v_pk_add_f32 v[10:11], v[10:11], v[98:99] neg_lo:[0,1] neg_hi:[0,1]
	v_pk_add_f32 v[24:25], v[24:25], v[26:27] neg_lo:[0,1] neg_hi:[0,1]
	v_pk_add_f32 v[0:1], v[0:1], v[26:27]
	v_pk_add_f32 v[10:11], v[10:11], v[24:25]
	v_pk_fma_f32 v[24:25], v[28:29], s[0:1], v[56:57] op_sel:[1,0,0] op_sel_hi:[0,0,1]
	v_pk_fma_f32 v[26:27], v[28:29], s[0:1], v[56:57] op_sel:[1,0,0] op_sel_hi:[0,0,1] neg_lo:[1,0,0] neg_hi:[1,0,0]
	v_pk_fma_f32 v[26:27], v[6:7], s[4:5], v[26:27] op_sel:[1,0,0] op_sel_hi:[0,0,1]
	v_pk_fma_f32 v[6:7], v[6:7], s[4:5], v[24:25] op_sel:[1,0,0] op_sel_hi:[0,0,1] neg_lo:[1,0,0] neg_hi:[1,0,0]
	v_pk_mul_f32 v[30:31], v[20:21], v[14:15] op_sel:[0,1]
	s_mov_b32 s16, 0x3e9e377a
	v_mov_b32_e32 v24, v6
	v_mov_b32_e32 v25, v27
	;; [unrolled: 1-line block ×3, first 2 shown]
	v_pk_mul_f32 v[66:67], v[22:23], v[52:53] op_sel:[0,1]
	v_pk_fma_f32 v[24:25], v[10:11], s[16:17], v[24:25] op_sel_hi:[1,0,1]
	v_pk_fma_f32 v[26:27], v[10:11], s[16:17], v[26:27] op_sel_hi:[1,0,1]
	v_pk_fma_f32 v[10:11], v[20:21], v[14:15], v[30:31] op_sel:[0,0,1] op_sel_hi:[1,1,0]
	v_pk_fma_f32 v[6:7], v[20:21], v[14:15], v[30:31] op_sel:[0,0,1] op_sel_hi:[1,0,0] neg_lo:[1,0,0] neg_hi:[1,0,0]
	v_pk_mul_f32 v[70:71], v[16:17], v[8:9] op_sel:[0,1]
	v_mov_b32_e32 v11, v7
	v_pk_fma_f32 v[14:15], v[22:23], v[8:9], v[66:67] op_sel:[0,0,1] op_sel_hi:[1,1,0]
	v_pk_fma_f32 v[6:7], v[22:23], v[8:9], v[66:67] op_sel:[0,0,1] op_sel_hi:[1,0,0] neg_lo:[1,0,0] neg_hi:[1,0,0]
	v_pk_mul_f32 v[96:97], v[18:19], v[54:55] op_sel:[0,1]
	v_mov_b32_e32 v15, v7
	v_pk_fma_f32 v[8:9], v[16:17], v[52:53], v[70:71] op_sel:[0,0,1] op_sel_hi:[1,1,0]
	v_pk_fma_f32 v[6:7], v[16:17], v[52:53], v[70:71] op_sel:[0,0,1] op_sel_hi:[1,0,0] neg_lo:[1,0,0] neg_hi:[1,0,0]
	v_pk_fma_f32 v[16:17], v[18:19], v[54:55], v[96:97] op_sel:[0,0,1] op_sel_hi:[1,1,0]
	v_mov_b32_e32 v9, v7
	v_pk_fma_f32 v[6:7], v[18:19], v[54:55], v[96:97] op_sel:[0,0,1] op_sel_hi:[1,0,0] neg_lo:[1,0,0] neg_hi:[1,0,0]
	v_pk_add_f32 v[20:21], v[14:15], v[8:9] neg_lo:[0,1] neg_hi:[0,1]
	v_mov_b32_e32 v17, v7
	v_pk_add_f32 v[6:7], v[16:17], v[10:11]
	v_pk_add_f32 v[18:19], v[10:11], v[16:17] neg_lo:[0,1] neg_hi:[0,1]
	v_pk_fma_f32 v[6:7], v[6:7], 0.5, v[12:13] op_sel_hi:[1,0,1] neg_lo:[1,0,0] neg_hi:[1,0,0]
	v_pk_add_f32 v[52:53], v[8:9], v[16:17] neg_lo:[0,1] neg_hi:[0,1]
	v_pk_fma_f32 v[22:23], v[20:21], s[0:1], v[6:7] op_sel:[1,0,0] op_sel_hi:[0,0,1]
	v_pk_fma_f32 v[6:7], v[20:21], s[0:1], v[6:7] op_sel:[1,0,0] op_sel_hi:[0,0,1] neg_lo:[1,0,0] neg_hi:[1,0,0]
	v_pk_fma_f32 v[28:29], v[18:19], s[4:5], v[6:7] op_sel:[1,0,0] op_sel_hi:[0,0,1]
	v_pk_add_f32 v[6:7], v[14:15], v[10:11] neg_lo:[0,1] neg_hi:[0,1]
	v_pk_add_f32 v[54:55], v[14:15], v[8:9]
	v_pk_add_f32 v[52:53], v[52:53], v[6:7]
	;; [unrolled: 1-line block ×3, first 2 shown]
	v_pk_fma_f32 v[12:13], v[54:55], 0.5, v[12:13] op_sel_hi:[1,0,1] neg_lo:[1,0,0] neg_hi:[1,0,0]
	v_pk_add_f32 v[6:7], v[14:15], v[6:7]
	v_pk_add_f32 v[10:11], v[10:11], v[14:15] neg_lo:[0,1] neg_hi:[0,1]
	v_pk_add_f32 v[6:7], v[8:9], v[6:7]
	v_pk_add_f32 v[8:9], v[16:17], v[8:9] neg_lo:[0,1] neg_hi:[0,1]
	v_pk_fma_f32 v[22:23], v[18:19], s[4:5], v[22:23] op_sel:[1,0,0] op_sel_hi:[0,0,1] neg_lo:[1,0,0] neg_hi:[1,0,0]
	v_pk_add_f32 v[10:11], v[8:9], v[10:11]
	v_pk_fma_f32 v[8:9], v[18:19], s[0:1], v[12:13] op_sel:[1,0,0] op_sel_hi:[0,0,1]
	v_pk_fma_f32 v[12:13], v[18:19], s[0:1], v[12:13] op_sel:[1,0,0] op_sel_hi:[0,0,1] neg_lo:[1,0,0] neg_hi:[1,0,0]
	v_pk_fma_f32 v[12:13], v[20:21], s[4:5], v[12:13] op_sel:[1,0,0] op_sel_hi:[0,0,1] neg_lo:[1,0,0] neg_hi:[1,0,0]
	v_pk_fma_f32 v[8:9], v[20:21], s[4:5], v[8:9] op_sel:[1,0,0] op_sel_hi:[0,0,1]
	v_mov_b32_e32 v30, v22
	v_mov_b32_e32 v31, v29
	;; [unrolled: 1-line block ×6, first 2 shown]
	v_pk_fma_f32 v[2:3], v[4:5], s[16:17], v[2:3] op_sel_hi:[1,0,1]
	v_pk_fma_f32 v[4:5], v[4:5], s[16:17], v[60:61] op_sel_hi:[1,0,1]
	v_pk_add_f32 v[6:7], v[16:17], v[6:7]
	v_pk_fma_f32 v[8:9], v[10:11], s[16:17], v[12:13] op_sel_hi:[1,0,1]
	v_pk_fma_f32 v[14:15], v[10:11], s[16:17], v[14:15] op_sel_hi:[1,0,1]
	v_pk_fma_f32 v[10:11], v[52:53], s[16:17], v[30:31] op_sel_hi:[1,0,1]
	v_pk_fma_f32 v[12:13], v[52:53], s[16:17], v[28:29] op_sel_hi:[1,0,1]
	s_barrier
	ds_write2_b64 v194, v[0:1], v[2:3] offset1:18
	ds_write2_b64 v194, v[24:25], v[26:27] offset0:36 offset1:54
	ds_write_b64 v194, v[4:5] offset:576
	s_and_saveexec_b64 s[0:1], s[2:3]
	s_cbranch_execz .LBB0_25
; %bb.24:
	v_mul_u32_u24_e32 v16, 0x5a, v189
	v_add_lshl_u32 v16, v16, v190, 3
	ds_write2_b64 v16, v[6:7], v[8:9] offset1:18
	ds_write2_b64 v16, v[10:11], v[12:13] offset0:36 offset1:54
	ds_write_b64 v16, v[14:15] offset:576
.LBB0_25:
	s_or_b64 exec, exec, s[0:1]
	s_waitcnt lgkmcnt(0)
	s_barrier
	s_and_saveexec_b64 s[0:1], s[6:7]
	s_cbranch_execz .LBB0_27
; %bb.26:
	v_add_u32_e32 v4, 0x400, v72
	ds_read2_b64 v[24:27], v4 offset0:52 offset1:142
	v_add_u32_e32 v4, 0x800, v72
	v_add_u32_e32 v8, 0x1000, v72
	;; [unrolled: 1-line block ×3, first 2 shown]
	ds_read2_b64 v[0:3], v72 offset1:90
	ds_read2_b64 v[4:7], v4 offset0:104 offset1:194
	ds_read2_b64 v[8:11], v8 offset0:28 offset1:118
	;; [unrolled: 1-line block ×3, first 2 shown]
	ds_read_b64 v[68:69], v72 offset:7200
.LBB0_27:
	s_or_b64 exec, exec, s[0:1]
	s_and_saveexec_b64 s[0:1], s[6:7]
	s_cbranch_execz .LBB0_29
; %bb.28:
	s_waitcnt lgkmcnt(0)
	v_pk_mul_f32 v[18:19], v[50:51], v[68:69] op_sel:[0,1]
	v_pk_mul_f32 v[22:23], v[48:49], v[14:15] op_sel:[0,1]
	v_pk_fma_f32 v[60:61], v[50:51], v[68:69], v[18:19] op_sel:[0,0,1] op_sel_hi:[1,1,0]
	v_pk_fma_f32 v[18:19], v[50:51], v[68:69], v[18:19] op_sel:[0,0,1] op_sel_hi:[1,0,0] neg_lo:[1,0,0] neg_hi:[1,0,0]
	v_pk_mul_f32 v[20:21], v[34:35], v[24:25] op_sel:[0,1]
	v_mov_b32_e32 v61, v19
	v_pk_fma_f32 v[18:19], v[48:49], v[14:15], v[22:23] op_sel:[0,0,1] op_sel_hi:[1,1,0]
	v_pk_fma_f32 v[14:15], v[48:49], v[14:15], v[22:23] op_sel:[0,0,1] op_sel_hi:[1,0,0] neg_lo:[1,0,0] neg_hi:[1,0,0]
	v_pk_mul_f32 v[30:31], v[46:47], v[12:13] op_sel:[0,1]
	v_mov_b32_e32 v19, v15
	;; [unrolled: 4-line block ×8, first 2 shown]
	v_pk_fma_f32 v[8:9], v[36:37], v[6:7], v[56:57] op_sel:[0,0,1] op_sel_hi:[1,1,0]
	v_pk_fma_f32 v[6:7], v[36:37], v[6:7], v[56:57] op_sel:[0,0,1] op_sel_hi:[1,0,0] neg_lo:[1,0,0] neg_hi:[1,0,0]
	s_mov_b32 s20, 0xbf0a6770
	v_mov_b32_e32 v9, v7
	v_pk_fma_f32 v[6:7], v[32:33], v[2:3], v[16:17] op_sel:[0,0,1] op_sel_hi:[1,1,0]
	v_pk_fma_f32 v[2:3], v[32:33], v[2:3], v[16:17] op_sel:[0,0,1] op_sel_hi:[1,0,0] neg_lo:[1,0,0] neg_hi:[1,0,0]
	v_pk_add_f32 v[24:25], v[14:15], v[18:19] neg_lo:[0,1] neg_hi:[0,1]
	v_mov_b32_e32 v7, v3
	v_pk_add_f32 v[2:3], v[6:7], v[60:61] neg_lo:[0,1] neg_hi:[0,1]
	v_pk_add_f32 v[16:17], v[60:61], v[6:7]
	s_mov_b32 s2, 0x3f575c64
	v_pk_mul_f32 v[40:41], v[2:3], s[20:21] op_sel_hi:[1,0]
	s_mov_b32 s28, 0xbf68dda4
	v_pk_add_f32 v[26:27], v[18:19], v[14:15]
	v_pk_fma_f32 v[42:43], v[16:17], s[2:3], v[40:41] op_sel:[0,0,1] op_sel_hi:[1,0,0]
	v_pk_fma_f32 v[40:41], v[16:17], s[2:3], v[40:41] op_sel:[0,0,1] op_sel_hi:[1,0,0] neg_lo:[0,0,1] neg_hi:[0,0,1]
	s_mov_b32 s4, 0x3ed4b147
	v_pk_mul_f32 v[46:47], v[24:25], s[28:29] op_sel_hi:[1,0]
	v_mov_b32_e32 v44, v42
	v_mov_b32_e32 v45, v41
	v_pk_fma_f32 v[48:49], v[26:27], s[4:5], v[46:47] op_sel:[0,0,1] op_sel_hi:[1,0,0]
	v_pk_fma_f32 v[46:47], v[26:27], s[4:5], v[46:47] op_sel:[0,0,1] op_sel_hi:[1,0,0] neg_lo:[0,0,1] neg_hi:[0,0,1]
	v_pk_add_f32 v[28:29], v[12:13], v[20:21] neg_lo:[0,1] neg_hi:[0,1]
	v_pk_add_f32 v[44:45], v[0:1], v[44:45]
	v_mov_b32_e32 v50, v48
	v_mov_b32_e32 v51, v47
	s_mov_b32 s18, 0xbf7d64f0
	v_pk_add_f32 v[30:31], v[20:21], v[12:13]
	v_pk_add_f32 v[44:45], v[50:51], v[44:45]
	s_mov_b32 s6, 0xbe11bafb
	v_pk_mul_f32 v[50:51], v[28:29], s[18:19] op_sel_hi:[1,0]
	v_pk_add_f32 v[6:7], v[0:1], v[6:7]
	v_pk_fma_f32 v[52:53], v[30:31], s[6:7], v[50:51] op_sel:[0,0,1] op_sel_hi:[1,0,0]
	v_pk_fma_f32 v[50:51], v[30:31], s[6:7], v[50:51] op_sel:[0,0,1] op_sel_hi:[1,0,0] neg_lo:[0,0,1] neg_hi:[0,0,1]
	v_pk_add_f32 v[6:7], v[14:15], v[6:7]
	v_pk_add_f32 v[32:33], v[10:11], v[22:23] neg_lo:[0,1] neg_hi:[0,1]
	v_mov_b32_e32 v54, v52
	v_mov_b32_e32 v55, v51
	s_mov_b32 s22, 0xbf4178ce
	v_pk_add_f32 v[6:7], v[12:13], v[6:7]
	v_pk_add_f32 v[34:35], v[22:23], v[10:11]
	;; [unrolled: 1-line block ×3, first 2 shown]
	s_mov_b32 s16, 0xbf27a4f4
	v_pk_mul_f32 v[54:55], v[32:33], s[22:23] op_sel_hi:[1,0]
	v_pk_add_f32 v[6:7], v[10:11], v[6:7]
	v_pk_fma_f32 v[56:57], v[34:35], s[16:17], v[54:55] op_sel:[0,0,1] op_sel_hi:[1,0,0]
	v_pk_fma_f32 v[54:55], v[34:35], s[16:17], v[54:55] op_sel:[0,0,1] op_sel_hi:[1,0,0] neg_lo:[0,0,1] neg_hi:[0,0,1]
	v_pk_add_f32 v[6:7], v[8:9], v[6:7]
	v_pk_add_f32 v[36:37], v[8:9], v[4:5] neg_lo:[0,1] neg_hi:[0,1]
	v_pk_add_f32 v[38:39], v[4:5], v[8:9]
	v_mov_b32_e32 v58, v56
	v_mov_b32_e32 v59, v55
	s_mov_b32 s26, 0xbe903f40
	v_pk_add_f32 v[4:5], v[4:5], v[6:7]
	v_pk_add_f32 v[44:45], v[58:59], v[44:45]
	s_mov_b32 s24, 0xbf75a155
	v_pk_mul_f32 v[58:59], v[36:37], s[26:27] op_sel_hi:[1,0]
	v_pk_add_f32 v[4:5], v[22:23], v[4:5]
	v_pk_fma_f32 v[62:63], v[38:39], s[24:25], v[58:59] op_sel:[0,0,1] op_sel_hi:[1,0,0]
	v_pk_fma_f32 v[58:59], v[38:39], s[24:25], v[58:59] op_sel:[0,0,1] op_sel_hi:[1,0,0] neg_lo:[0,0,1] neg_hi:[0,0,1]
	v_pk_add_f32 v[4:5], v[20:21], v[4:5]
	v_mov_b32_e32 v64, v62
	v_mov_b32_e32 v65, v59
	v_pk_add_f32 v[4:5], v[18:19], v[4:5]
	v_pk_add_f32 v[44:45], v[64:65], v[44:45]
	;; [unrolled: 1-line block ×3, first 2 shown]
	ds_write2_b64 v72, v[4:5], v[44:45] offset1:90
	v_pk_mul_f32 v[4:5], v[2:3], s[28:29] op_sel_hi:[1,0]
	v_pk_mul_f32 v[10:11], v[24:25], s[22:23] op_sel_hi:[1,0]
	v_pk_fma_f32 v[6:7], v[16:17], s[4:5], v[4:5] op_sel:[0,0,1] op_sel_hi:[1,0,0]
	v_pk_fma_f32 v[4:5], v[16:17], s[4:5], v[4:5] op_sel:[0,0,1] op_sel_hi:[1,0,0] neg_lo:[0,0,1] neg_hi:[0,0,1]
	v_mov_b32_e32 v8, v6
	v_mov_b32_e32 v9, v5
	v_pk_fma_f32 v[12:13], v[26:27], s[16:17], v[10:11] op_sel:[0,0,1] op_sel_hi:[1,0,0]
	v_pk_fma_f32 v[10:11], v[26:27], s[16:17], v[10:11] op_sel:[0,0,1] op_sel_hi:[1,0,0] neg_lo:[0,0,1] neg_hi:[0,0,1]
	v_pk_add_f32 v[8:9], v[0:1], v[8:9]
	v_mov_b32_e32 v14, v12
	v_mov_b32_e32 v15, v11
	s_mov_b32 s28, 0x3e903f40
	v_pk_add_f32 v[8:9], v[14:15], v[8:9]
	v_pk_mul_f32 v[14:15], v[28:29], s[28:29] op_sel_hi:[1,0]
	s_mov_b32 s30, 0x3f7d64f0
	v_pk_fma_f32 v[18:19], v[30:31], s[24:25], v[14:15] op_sel:[0,0,1] op_sel_hi:[1,0,0]
	v_pk_fma_f32 v[14:15], v[30:31], s[24:25], v[14:15] op_sel:[0,0,1] op_sel_hi:[1,0,0] neg_lo:[0,0,1] neg_hi:[0,0,1]
	v_mov_b32_e32 v20, v18
	v_mov_b32_e32 v21, v15
	v_pk_add_f32 v[8:9], v[20:21], v[8:9]
	v_pk_mul_f32 v[20:21], v[32:33], s[30:31] op_sel_hi:[1,0]
	s_mov_b32 s34, 0x3f0a6770
	v_pk_fma_f32 v[22:23], v[34:35], s[6:7], v[20:21] op_sel:[0,0,1] op_sel_hi:[1,0,0]
	v_pk_fma_f32 v[20:21], v[34:35], s[6:7], v[20:21] op_sel:[0,0,1] op_sel_hi:[1,0,0] neg_lo:[0,0,1] neg_hi:[0,0,1]
	v_mov_b32_e32 v44, v22
	v_mov_b32_e32 v45, v21
	v_pk_add_f32 v[8:9], v[44:45], v[8:9]
	v_pk_mul_f32 v[44:45], v[36:37], s[34:35] op_sel_hi:[1,0]
	v_pk_mul_f32 v[66:67], v[24:25], s[28:29] op_sel_hi:[1,0]
	v_pk_fma_f32 v[60:61], v[38:39], s[2:3], v[44:45] op_sel:[0,0,1] op_sel_hi:[1,0,0]
	v_pk_fma_f32 v[44:45], v[38:39], s[2:3], v[44:45] op_sel:[0,0,1] op_sel_hi:[1,0,0] neg_lo:[0,0,1] neg_hi:[0,0,1]
	v_mov_b32_e32 v64, v60
	v_mov_b32_e32 v65, v45
	v_pk_add_f32 v[8:9], v[64:65], v[8:9]
	v_pk_mul_f32 v[64:65], v[2:3], s[18:19] op_sel_hi:[1,0]
	s_mov_b32 s28, 0x3f68dda4
	v_pk_fma_f32 v[98:99], v[16:17], s[6:7], v[64:65] op_sel:[0,0,1] op_sel_hi:[1,0,0]
	v_pk_fma_f32 v[64:65], v[16:17], s[6:7], v[64:65] op_sel:[0,0,1] op_sel_hi:[1,0,0] neg_lo:[0,0,1] neg_hi:[0,0,1]
	v_mov_b32_e32 v100, v98
	v_mov_b32_e32 v101, v65
	v_pk_fma_f32 v[102:103], v[26:27], s[24:25], v[66:67] op_sel:[0,0,1] op_sel_hi:[1,0,0]
	v_pk_fma_f32 v[66:67], v[26:27], s[24:25], v[66:67] op_sel:[0,0,1] op_sel_hi:[1,0,0] neg_lo:[0,0,1] neg_hi:[0,0,1]
	v_pk_mul_f32 v[68:69], v[28:29], s[28:29] op_sel_hi:[1,0]
	v_pk_add_f32 v[100:101], v[0:1], v[100:101]
	v_mov_b32_e32 v104, v102
	v_mov_b32_e32 v105, v67
	v_pk_add_f32 v[100:101], v[104:105], v[100:101]
	v_pk_fma_f32 v[104:105], v[30:31], s[4:5], v[68:69] op_sel:[0,0,1] op_sel_hi:[1,0,0]
	v_pk_fma_f32 v[68:69], v[30:31], s[4:5], v[68:69] op_sel:[0,0,1] op_sel_hi:[1,0,0] neg_lo:[0,0,1] neg_hi:[0,0,1]
	v_pk_mul_f32 v[70:71], v[32:33], s[20:21] op_sel_hi:[1,0]
	v_mov_b32_e32 v106, v104
	v_mov_b32_e32 v107, v69
	v_pk_add_f32 v[100:101], v[106:107], v[100:101]
	v_pk_fma_f32 v[106:107], v[34:35], s[2:3], v[70:71] op_sel:[0,0,1] op_sel_hi:[1,0,0]
	v_pk_fma_f32 v[70:71], v[34:35], s[2:3], v[70:71] op_sel:[0,0,1] op_sel_hi:[1,0,0] neg_lo:[0,0,1] neg_hi:[0,0,1]
	v_pk_mul_f32 v[96:97], v[36:37], s[22:23] op_sel_hi:[1,0]
	v_mov_b32_e32 v108, v106
	v_mov_b32_e32 v109, v71
	v_pk_add_f32 v[100:101], v[108:109], v[100:101]
	v_pk_fma_f32 v[108:109], v[38:39], s[16:17], v[96:97] op_sel:[0,0,1] op_sel_hi:[1,0,0]
	v_pk_fma_f32 v[96:97], v[38:39], s[16:17], v[96:97] op_sel:[0,0,1] op_sel_hi:[1,0,0] neg_lo:[0,0,1] neg_hi:[0,0,1]
	v_mov_b32_e32 v110, v108
	v_mov_b32_e32 v111, v97
	v_pk_add_f32 v[100:101], v[110:111], v[100:101]
	v_add_u32_e32 v5, 0x400, v72
	ds_write2_b64 v5, v[8:9], v[100:101] offset0:52 offset1:142
	v_pk_mul_f32 v[8:9], v[2:3], s[22:23] op_sel_hi:[1,0]
	v_pk_mul_f32 v[112:113], v[24:25], s[30:31] op_sel_hi:[1,0]
	v_pk_fma_f32 v[100:101], v[16:17], s[16:17], v[8:9] op_sel:[0,0,1] op_sel_hi:[1,0,0]
	v_pk_fma_f32 v[8:9], v[16:17], s[16:17], v[8:9] op_sel:[0,0,1] op_sel_hi:[1,0,0] neg_lo:[0,0,1] neg_hi:[0,0,1]
	v_mov_b32_e32 v110, v100
	v_mov_b32_e32 v111, v9
	v_pk_fma_f32 v[114:115], v[26:27], s[6:7], v[112:113] op_sel:[0,0,1] op_sel_hi:[1,0,0]
	v_pk_fma_f32 v[112:113], v[26:27], s[6:7], v[112:113] op_sel:[0,0,1] op_sel_hi:[1,0,0] neg_lo:[0,0,1] neg_hi:[0,0,1]
	v_pk_add_f32 v[110:111], v[0:1], v[110:111]
	v_mov_b32_e32 v116, v114
	v_mov_b32_e32 v117, v113
	v_pk_add_f32 v[110:111], v[116:117], v[110:111]
	v_pk_mul_f32 v[116:117], v[28:29], s[20:21] op_sel_hi:[1,0]
	v_pk_mul_f32 v[2:3], v[2:3], s[26:27] op_sel_hi:[1,0]
	v_pk_fma_f32 v[118:119], v[30:31], s[2:3], v[116:117] op_sel:[0,0,1] op_sel_hi:[1,0,0]
	v_pk_fma_f32 v[116:117], v[30:31], s[2:3], v[116:117] op_sel:[0,0,1] op_sel_hi:[1,0,0] neg_lo:[0,0,1] neg_hi:[0,0,1]
	v_mov_b32_e32 v120, v118
	v_mov_b32_e32 v121, v117
	v_pk_add_f32 v[110:111], v[120:121], v[110:111]
	v_pk_mul_f32 v[120:121], v[32:33], s[26:27] op_sel_hi:[1,0]
	v_pk_mul_f32 v[24:25], v[24:25], s[34:35] op_sel_hi:[1,0]
	v_pk_fma_f32 v[122:123], v[34:35], s[24:25], v[120:121] op_sel:[0,0,1] op_sel_hi:[1,0,0]
	v_pk_fma_f32 v[120:121], v[34:35], s[24:25], v[120:121] op_sel:[0,0,1] op_sel_hi:[1,0,0] neg_lo:[0,0,1] neg_hi:[0,0,1]
	v_mov_b32_e32 v124, v122
	v_mov_b32_e32 v125, v121
	v_pk_add_f32 v[110:111], v[124:125], v[110:111]
	v_pk_mul_f32 v[124:125], v[36:37], s[28:29] op_sel_hi:[1,0]
	v_pk_fma_f32 v[130:131], v[26:27], s[2:3], v[24:25] op_sel:[0,0,1] op_sel_hi:[1,0,0]
	v_pk_fma_f32 v[126:127], v[38:39], s[4:5], v[124:125] op_sel:[0,0,1] op_sel_hi:[1,0,0]
	v_pk_fma_f32 v[124:125], v[38:39], s[4:5], v[124:125] op_sel:[0,0,1] op_sel_hi:[1,0,0] neg_lo:[0,0,1] neg_hi:[0,0,1]
	v_mov_b32_e32 v128, v126
	v_mov_b32_e32 v129, v125
	v_pk_add_f32 v[110:111], v[128:129], v[110:111]
	v_pk_fma_f32 v[128:129], v[16:17], s[24:25], v[2:3] op_sel:[0,0,1] op_sel_hi:[1,0,0]
	v_pk_fma_f32 v[2:3], v[16:17], s[24:25], v[2:3] op_sel:[0,0,1] op_sel_hi:[1,0,0] neg_lo:[0,0,1] neg_hi:[0,0,1]
	v_mov_b32_e32 v16, v128
	v_mov_b32_e32 v17, v3
	v_pk_fma_f32 v[24:25], v[26:27], s[2:3], v[24:25] op_sel:[0,0,1] op_sel_hi:[1,0,0] neg_lo:[0,0,1] neg_hi:[0,0,1]
	v_pk_mul_f32 v[28:29], v[28:29], s[22:23] op_sel_hi:[1,0]
	v_pk_add_f32 v[16:17], v[0:1], v[16:17]
	v_mov_b32_e32 v26, v130
	v_mov_b32_e32 v27, v25
	v_pk_add_f32 v[16:17], v[26:27], v[16:17]
	v_pk_fma_f32 v[26:27], v[30:31], s[16:17], v[28:29] op_sel:[0,0,1] op_sel_hi:[1,0,0]
	v_pk_fma_f32 v[28:29], v[30:31], s[16:17], v[28:29] op_sel:[0,0,1] op_sel_hi:[1,0,0] neg_lo:[0,0,1] neg_hi:[0,0,1]
	v_pk_mul_f32 v[32:33], v[32:33], s[28:29] op_sel_hi:[1,0]
	v_mov_b32_e32 v30, v26
	v_mov_b32_e32 v31, v29
	v_pk_add_f32 v[16:17], v[30:31], v[16:17]
	v_pk_fma_f32 v[30:31], v[34:35], s[4:5], v[32:33] op_sel:[0,0,1] op_sel_hi:[1,0,0]
	v_pk_fma_f32 v[32:33], v[34:35], s[4:5], v[32:33] op_sel:[0,0,1] op_sel_hi:[1,0,0] neg_lo:[0,0,1] neg_hi:[0,0,1]
	v_pk_mul_f32 v[36:37], v[36:37], s[18:19] op_sel_hi:[1,0]
	v_mov_b32_e32 v34, v30
	v_mov_b32_e32 v35, v33
	v_pk_add_f32 v[16:17], v[34:35], v[16:17]
	v_pk_fma_f32 v[34:35], v[38:39], s[6:7], v[36:37] op_sel:[0,0,1] op_sel_hi:[1,0,0]
	v_pk_fma_f32 v[36:37], v[38:39], s[6:7], v[36:37] op_sel:[0,0,1] op_sel_hi:[1,0,0] neg_lo:[0,0,1] neg_hi:[0,0,1]
	v_mov_b32_e32 v38, v34
	v_mov_b32_e32 v39, v37
	v_pk_add_f32 v[16:17], v[38:39], v[16:17]
	v_add_u32_e32 v3, 0x800, v72
	ds_write2_b64 v3, v[110:111], v[16:17] offset0:104 offset1:194
	v_mov_b32_e32 v3, v129
	v_mov_b32_e32 v9, v101
	v_pk_add_f32 v[2:3], v[0:1], v[2:3]
	v_mov_b32_e32 v25, v131
	v_pk_add_f32 v[8:9], v[0:1], v[8:9]
	;; [unrolled: 2-line block ×9, first 2 shown]
	v_pk_add_f32 v[8:9], v[124:125], v[8:9]
	v_add_u32_e32 v5, 0x1000, v72
	ds_write2_b64 v5, v[2:3], v[8:9] offset0:28 offset1:118
	v_mov_b32_e32 v65, v99
	v_mov_b32_e32 v5, v7
	;; [unrolled: 1-line block ×3, first 2 shown]
	v_pk_add_f32 v[2:3], v[0:1], v[64:65]
	v_mov_b32_e32 v67, v103
	v_pk_add_f32 v[4:5], v[0:1], v[4:5]
	v_mov_b32_e32 v11, v13
	;; [unrolled: 2-line block ×12, first 2 shown]
	v_pk_add_f32 v[2:3], v[96:97], v[2:3]
	v_pk_add_f32 v[4:5], v[44:45], v[4:5]
	v_add_u32_e32 v6, 0x1400, v72
	v_pk_add_f32 v[0:1], v[58:59], v[0:1]
	ds_write2_b64 v6, v[2:3], v[4:5] offset0:80 offset1:170
	ds_write_b64 v72, v[0:1] offset:7200
.LBB0_29:
	s_or_b64 exec, exec, s[0:1]
	s_waitcnt lgkmcnt(0)
	s_barrier
	ds_read2_b64 v[0:3], v72 offset1:110
	v_mad_u64_u32 v[10:11], s[0:1], s14, v84, 0
	v_mov_b32_e32 v4, v11
	v_mad_u64_u32 v[4:5], s[0:1], s15, v84, v[4:5]
	v_mov_b32_e32 v11, v4
	s_waitcnt lgkmcnt(0)
	v_mul_f32_e32 v4, v95, v1
	v_fmac_f32_e32 v4, v94, v0
	v_mul_f32_e32 v0, v95, v0
	s_mov_b32 s0, 0xb37565e2
	v_fma_f32 v0, v94, v1, -v0
	s_mov_b32 s1, 0x3f508cab
	v_cvt_f64_f32_e32 v[0:1], v0
	v_cvt_f64_f32_e32 v[4:5], v4
	v_mul_f64 v[0:1], v[0:1], s[0:1]
	v_mul_f64 v[4:5], v[4:5], s[0:1]
	v_cvt_f32_f64_e32 v13, v[0:1]
	v_mad_u64_u32 v[0:1], s[2:3], s12, v76, 0
	v_cvt_f32_f64_e32 v12, v[4:5]
	v_mov_b32_e32 v4, v1
	v_add_u32_e32 v1, 0xc00, v72
	v_mad_u64_u32 v[14:15], s[2:3], s13, v76, v[4:5]
	ds_read2_b64 v[4:7], v1 offset0:111 offset1:221
	v_mov_b32_e32 v8, s10
	v_mov_b32_e32 v9, s11
	;; [unrolled: 1-line block ×3, first 2 shown]
	v_lshl_add_u64 v[8:9], v[10:11], 3, v[8:9]
	v_lshl_add_u64 v[0:1], v[0:1], 3, v[8:9]
	s_waitcnt lgkmcnt(0)
	v_mul_f32_e32 v8, v93, v5
	v_fmac_f32_e32 v8, v92, v4
	v_mul_f32_e32 v4, v93, v4
	v_fma_f32 v4, v92, v5, -v4
	v_cvt_f64_f32_e32 v[8:9], v8
	v_cvt_f64_f32_e32 v[4:5], v4
	s_mul_i32 s2, s13, 0x1ef
	s_mul_hi_u32 s3, s12, 0x1ef
	s_mul_hi_u32 s5, s12, 0xfffffe7f
	v_mul_f64 v[8:9], v[8:9], s[0:1]
	v_mul_f64 v[4:5], v[4:5], s[0:1]
	s_add_i32 s3, s3, s2
	s_mul_i32 s2, s12, 0x1ef
	s_mul_i32 s4, s13, 0xfffffe7f
	s_sub_i32 s5, s5, s12
	v_cvt_f32_f64_e32 v8, v[8:9]
	v_cvt_f32_f64_e32 v9, v[4:5]
	s_lshl_b64 s[6:7], s[2:3], 3
	v_mul_f32_e32 v4, v91, v3
	s_add_i32 s5, s5, s4
	s_mul_i32 s4, s12, 0xfffffe7f
	global_store_dwordx2 v[0:1], v[12:13], off
	v_lshl_add_u64 v[0:1], v[0:1], 0, s[6:7]
	v_fmac_f32_e32 v4, v90, v2
	v_mul_f32_e32 v2, v91, v2
	s_lshl_b64 s[10:11], s[4:5], 3
	global_store_dwordx2 v[0:1], v[8:9], off
	v_fma_f32 v2, v90, v3, -v2
	v_lshl_add_u64 v[8:9], v[0:1], 0, s[10:11]
	v_mul_f32_e32 v0, v89, v7
	v_cvt_f64_f32_e32 v[4:5], v4
	v_cvt_f64_f32_e32 v[2:3], v2
	v_fmac_f32_e32 v0, v88, v6
	v_mul_f64 v[4:5], v[4:5], s[0:1]
	v_mul_f64 v[2:3], v[2:3], s[0:1]
	v_cvt_f64_f32_e32 v[0:1], v0
	v_cvt_f32_f64_e32 v4, v[4:5]
	v_cvt_f32_f64_e32 v5, v[2:3]
	v_mul_f64 v[0:1], v[0:1], s[0:1]
	global_store_dwordx2 v[8:9], v[4:5], off
	v_cvt_f32_f64_e32 v4, v[0:1]
	v_mul_f32_e32 v0, v89, v6
	v_fma_f32 v0, v88, v7, -v0
	v_cvt_f64_f32_e32 v[6:7], v0
	v_add_u32_e32 v0, 0x400, v72
	ds_read2_b64 v[0:3], v0 offset0:92 offset1:202
	v_mul_f64 v[6:7], v[6:7], s[0:1]
	v_cvt_f32_f64_e32 v5, v[6:7]
	v_lshl_add_u64 v[8:9], v[8:9], 0, s[6:7]
	global_store_dwordx2 v[8:9], v[4:5], off
	s_waitcnt lgkmcnt(0)
	v_mul_f32_e32 v4, v87, v1
	v_fmac_f32_e32 v4, v86, v0
	v_cvt_f64_f32_e32 v[4:5], v4
	v_mul_f64 v[4:5], v[4:5], s[0:1]
	v_cvt_f32_f64_e32 v10, v[4:5]
	v_add_u32_e32 v4, 0x1400, v72
	ds_read2_b64 v[4:7], v4 offset0:75 offset1:185
	v_mul_f32_e32 v0, v87, v0
	v_fma_f32 v0, v86, v1, -v0
	v_cvt_f64_f32_e32 v[0:1], v0
	v_mul_f64 v[0:1], v[0:1], s[0:1]
	v_cvt_f32_f64_e32 v11, v[0:1]
	v_lshl_add_u64 v[0:1], v[8:9], 0, s[10:11]
	s_waitcnt lgkmcnt(0)
	v_mul_f32_e32 v8, v83, v5
	v_fmac_f32_e32 v8, v82, v4
	v_mul_f32_e32 v4, v83, v4
	v_fma_f32 v4, v82, v5, -v4
	v_cvt_f64_f32_e32 v[8:9], v8
	v_cvt_f64_f32_e32 v[4:5], v4
	v_mul_f64 v[8:9], v[8:9], s[0:1]
	v_mul_f64 v[4:5], v[4:5], s[0:1]
	v_cvt_f32_f64_e32 v8, v[8:9]
	v_cvt_f32_f64_e32 v9, v[4:5]
	v_mul_f32_e32 v4, v81, v3
	v_fmac_f32_e32 v4, v80, v2
	v_mul_f32_e32 v2, v81, v2
	v_fma_f32 v2, v80, v3, -v2
	v_cvt_f64_f32_e32 v[4:5], v4
	v_cvt_f64_f32_e32 v[2:3], v2
	v_mul_f64 v[4:5], v[4:5], s[0:1]
	v_mul_f64 v[2:3], v[2:3], s[0:1]
	v_cvt_f32_f64_e32 v4, v[4:5]
	v_cvt_f32_f64_e32 v5, v[2:3]
	v_mul_f32_e32 v2, v79, v7
	v_fmac_f32_e32 v2, v78, v6
	v_cvt_f64_f32_e32 v[2:3], v2
	v_mul_f64 v[2:3], v[2:3], s[0:1]
	global_store_dwordx2 v[0:1], v[10:11], off
	v_lshl_add_u64 v[0:1], v[0:1], 0, s[6:7]
	v_cvt_f32_f64_e32 v2, v[2:3]
	v_mul_f32_e32 v3, v79, v6
	global_store_dwordx2 v[0:1], v[8:9], off
	v_lshl_add_u64 v[0:1], v[0:1], 0, s[10:11]
	v_fma_f32 v3, v78, v7, -v3
	global_store_dwordx2 v[0:1], v[4:5], off
	v_cvt_f64_f32_e32 v[4:5], v3
	v_mul_f64 v[4:5], v[4:5], s[0:1]
	v_cvt_f32_f64_e32 v3, v[4:5]
	v_lshl_add_u64 v[0:1], v[0:1], 0, s[6:7]
	global_store_dwordx2 v[0:1], v[2:3], off
	s_and_b64 exec, exec, s[8:9]
	s_cbranch_execz .LBB0_31
; %bb.30:
	s_movk_i32 s6, 0x1000
	global_load_dwordx2 v[2:3], v[74:75], off offset:3520
	v_add_co_u32_e32 v4, vcc, s6, v74
	ds_read_b64 v[6:7], v72 offset:3520
	ds_read_b64 v[8:9], v72 offset:7480
	v_addc_co_u32_e32 v5, vcc, 0, v75, vcc
	global_load_dwordx2 v[4:5], v[4:5], off offset:3384
	v_lshl_add_u64 v[0:1], s[4:5], 3, v[0:1]
	s_waitcnt vmcnt(1) lgkmcnt(1)
	v_mul_f32_e32 v10, v7, v3
	v_mul_f32_e32 v3, v6, v3
	v_fmac_f32_e32 v10, v6, v2
	v_fma_f32 v6, v2, v7, -v3
	v_cvt_f64_f32_e32 v[2:3], v10
	v_cvt_f64_f32_e32 v[6:7], v6
	v_mul_f64 v[2:3], v[2:3], s[0:1]
	s_waitcnt vmcnt(0) lgkmcnt(0)
	v_mul_f32_e32 v10, v9, v5
	v_mul_f32_e32 v5, v8, v5
	v_mul_f64 v[6:7], v[6:7], s[0:1]
	v_fmac_f32_e32 v10, v8, v4
	v_fma_f32 v8, v4, v9, -v5
	v_cvt_f32_f64_e32 v2, v[2:3]
	v_cvt_f32_f64_e32 v3, v[6:7]
	v_cvt_f64_f32_e32 v[4:5], v10
	v_cvt_f64_f32_e32 v[6:7], v8
	global_store_dwordx2 v[0:1], v[2:3], off
	v_mul_f64 v[2:3], v[4:5], s[0:1]
	v_mul_f64 v[4:5], v[6:7], s[0:1]
	v_cvt_f32_f64_e32 v2, v[2:3]
	v_cvt_f32_f64_e32 v3, v[4:5]
	v_lshl_add_u64 v[0:1], s[2:3], 3, v[0:1]
	global_store_dwordx2 v[0:1], v[2:3], off
.LBB0_31:
	s_endpgm
	.section	.rodata,"a",@progbits
	.p2align	6, 0x0
	.amdhsa_kernel bluestein_single_back_len990_dim1_sp_op_CI_CI
		.amdhsa_group_segment_fixed_size 7920
		.amdhsa_private_segment_fixed_size 0
		.amdhsa_kernarg_size 104
		.amdhsa_user_sgpr_count 2
		.amdhsa_user_sgpr_dispatch_ptr 0
		.amdhsa_user_sgpr_queue_ptr 0
		.amdhsa_user_sgpr_kernarg_segment_ptr 1
		.amdhsa_user_sgpr_dispatch_id 0
		.amdhsa_user_sgpr_kernarg_preload_length 0
		.amdhsa_user_sgpr_kernarg_preload_offset 0
		.amdhsa_user_sgpr_private_segment_size 0
		.amdhsa_uses_dynamic_stack 0
		.amdhsa_enable_private_segment 0
		.amdhsa_system_sgpr_workgroup_id_x 1
		.amdhsa_system_sgpr_workgroup_id_y 0
		.amdhsa_system_sgpr_workgroup_id_z 0
		.amdhsa_system_sgpr_workgroup_info 0
		.amdhsa_system_vgpr_workitem_id 0
		.amdhsa_next_free_vgpr 198
		.amdhsa_next_free_sgpr 44
		.amdhsa_accum_offset 200
		.amdhsa_reserve_vcc 1
		.amdhsa_float_round_mode_32 0
		.amdhsa_float_round_mode_16_64 0
		.amdhsa_float_denorm_mode_32 3
		.amdhsa_float_denorm_mode_16_64 3
		.amdhsa_dx10_clamp 1
		.amdhsa_ieee_mode 1
		.amdhsa_fp16_overflow 0
		.amdhsa_tg_split 0
		.amdhsa_exception_fp_ieee_invalid_op 0
		.amdhsa_exception_fp_denorm_src 0
		.amdhsa_exception_fp_ieee_div_zero 0
		.amdhsa_exception_fp_ieee_overflow 0
		.amdhsa_exception_fp_ieee_underflow 0
		.amdhsa_exception_fp_ieee_inexact 0
		.amdhsa_exception_int_div_zero 0
	.end_amdhsa_kernel
	.text
.Lfunc_end0:
	.size	bluestein_single_back_len990_dim1_sp_op_CI_CI, .Lfunc_end0-bluestein_single_back_len990_dim1_sp_op_CI_CI
                                        ; -- End function
	.section	.AMDGPU.csdata,"",@progbits
; Kernel info:
; codeLenInByte = 11784
; NumSgprs: 50
; NumVgprs: 198
; NumAgprs: 0
; TotalNumVgprs: 198
; ScratchSize: 0
; MemoryBound: 0
; FloatMode: 240
; IeeeMode: 1
; LDSByteSize: 7920 bytes/workgroup (compile time only)
; SGPRBlocks: 6
; VGPRBlocks: 24
; NumSGPRsForWavesPerEU: 50
; NumVGPRsForWavesPerEU: 198
; AccumOffset: 200
; Occupancy: 2
; WaveLimiterHint : 1
; COMPUTE_PGM_RSRC2:SCRATCH_EN: 0
; COMPUTE_PGM_RSRC2:USER_SGPR: 2
; COMPUTE_PGM_RSRC2:TRAP_HANDLER: 0
; COMPUTE_PGM_RSRC2:TGID_X_EN: 1
; COMPUTE_PGM_RSRC2:TGID_Y_EN: 0
; COMPUTE_PGM_RSRC2:TGID_Z_EN: 0
; COMPUTE_PGM_RSRC2:TIDIG_COMP_CNT: 0
; COMPUTE_PGM_RSRC3_GFX90A:ACCUM_OFFSET: 49
; COMPUTE_PGM_RSRC3_GFX90A:TG_SPLIT: 0
	.text
	.p2alignl 6, 3212836864
	.fill 256, 4, 3212836864
	.type	__hip_cuid_c65aa1ac5f96711b,@object ; @__hip_cuid_c65aa1ac5f96711b
	.section	.bss,"aw",@nobits
	.globl	__hip_cuid_c65aa1ac5f96711b
__hip_cuid_c65aa1ac5f96711b:
	.byte	0                               ; 0x0
	.size	__hip_cuid_c65aa1ac5f96711b, 1

	.ident	"AMD clang version 19.0.0git (https://github.com/RadeonOpenCompute/llvm-project roc-6.4.0 25133 c7fe45cf4b819c5991fe208aaa96edf142730f1d)"
	.section	".note.GNU-stack","",@progbits
	.addrsig
	.addrsig_sym __hip_cuid_c65aa1ac5f96711b
	.amdgpu_metadata
---
amdhsa.kernels:
  - .agpr_count:     0
    .args:
      - .actual_access:  read_only
        .address_space:  global
        .offset:         0
        .size:           8
        .value_kind:     global_buffer
      - .actual_access:  read_only
        .address_space:  global
        .offset:         8
        .size:           8
        .value_kind:     global_buffer
      - .actual_access:  read_only
        .address_space:  global
        .offset:         16
        .size:           8
        .value_kind:     global_buffer
      - .actual_access:  read_only
        .address_space:  global
        .offset:         24
        .size:           8
        .value_kind:     global_buffer
      - .actual_access:  read_only
        .address_space:  global
        .offset:         32
        .size:           8
        .value_kind:     global_buffer
      - .offset:         40
        .size:           8
        .value_kind:     by_value
      - .address_space:  global
        .offset:         48
        .size:           8
        .value_kind:     global_buffer
      - .address_space:  global
        .offset:         56
        .size:           8
        .value_kind:     global_buffer
      - .address_space:  global
        .offset:         64
        .size:           8
        .value_kind:     global_buffer
      - .address_space:  global
        .offset:         72
        .size:           8
        .value_kind:     global_buffer
      - .offset:         80
        .size:           4
        .value_kind:     by_value
      - .address_space:  global
        .offset:         88
        .size:           8
        .value_kind:     global_buffer
      - .address_space:  global
        .offset:         96
        .size:           8
        .value_kind:     global_buffer
    .group_segment_fixed_size: 7920
    .kernarg_segment_align: 8
    .kernarg_segment_size: 104
    .language:       OpenCL C
    .language_version:
      - 2
      - 0
    .max_flat_workgroup_size: 110
    .name:           bluestein_single_back_len990_dim1_sp_op_CI_CI
    .private_segment_fixed_size: 0
    .sgpr_count:     50
    .sgpr_spill_count: 0
    .symbol:         bluestein_single_back_len990_dim1_sp_op_CI_CI.kd
    .uniform_work_group_size: 1
    .uses_dynamic_stack: false
    .vgpr_count:     198
    .vgpr_spill_count: 0
    .wavefront_size: 64
amdhsa.target:   amdgcn-amd-amdhsa--gfx950
amdhsa.version:
  - 1
  - 2
...

	.end_amdgpu_metadata
